;; amdgpu-corpus repo=ROCm/rocFFT kind=compiled arch=gfx1030 opt=O3
	.text
	.amdgcn_target "amdgcn-amd-amdhsa--gfx1030"
	.amdhsa_code_object_version 6
	.protected	bluestein_single_back_len1053_dim1_dp_op_CI_CI ; -- Begin function bluestein_single_back_len1053_dim1_dp_op_CI_CI
	.globl	bluestein_single_back_len1053_dim1_dp_op_CI_CI
	.p2align	8
	.type	bluestein_single_back_len1053_dim1_dp_op_CI_CI,@function
bluestein_single_back_len1053_dim1_dp_op_CI_CI: ; @bluestein_single_back_len1053_dim1_dp_op_CI_CI
; %bb.0:
	s_load_dwordx4 s[16:19], s[4:5], 0x28
	v_mul_u32_u24_e32 v1, 0x231, v0
	s_mov_b64 s[50:51], s[2:3]
	s_mov_b64 s[48:49], s[0:1]
	v_mov_b32_e32 v236, 0
	s_add_u32 s48, s48, s7
	v_lshrrev_b32_e32 v1, 16, v1
	s_addc_u32 s49, s49, 0
	s_mov_b32 s0, exec_lo
	v_add_nc_u32_e32 v235, s6, v1
	s_waitcnt lgkmcnt(0)
	v_cmpx_gt_u64_e64 s[16:17], v[235:236]
	s_cbranch_execz .LBB0_10
; %bb.1:
	s_clause 0x1
	s_load_dwordx4 s[0:3], s[4:5], 0x18
	s_load_dwordx4 s[12:15], s[4:5], 0x0
	v_mul_lo_u16 v1, 0x75, v1
	s_mov_b32 s7, 0xbfebb67a
                                        ; implicit-def: $vgpr144_vgpr145
                                        ; implicit-def: $vgpr148_vgpr149
                                        ; implicit-def: $vgpr152_vgpr153
                                        ; implicit-def: $vgpr156_vgpr157
	v_sub_nc_u16 v0, v0, v1
	v_and_b32_e32 v228, 0xffff, v0
	v_lshlrev_b32_e32 v255, 4, v228
	v_add_co_u32 v176, null, 0x75, v228
	s_waitcnt lgkmcnt(0)
	s_load_dwordx4 s[8:11], s[0:1], 0x0
	s_clause 0x1
	global_load_dwordx4 v[224:227], v255, s[12:13]
	global_load_dwordx4 v[73:76], v255, s[12:13] offset:1872
	v_add_co_u32 v23, s0, s12, v255
	v_add_co_ci_u32_e64 v24, null, s13, 0, s0
	v_add_co_u32 v223, null, 0xea, v228
	s_waitcnt lgkmcnt(0)
	v_mad_u64_u32 v[1:2], null, s10, v235, 0
	v_mad_u64_u32 v[3:4], null, s8, v228, 0
	s_mul_i32 s0, s9, 0x15f0
	s_mul_hi_u32 s1, s8, 0x15f0
	s_mul_i32 s6, s8, 0x15f0
	s_add_i32 s1, s1, s0
	s_mul_i32 s0, s9, 0xffffdb70
	v_mad_u64_u32 v[5:6], null, s11, v235, v[2:3]
	s_sub_i32 s0, s0, s8
	v_mad_u64_u32 v[6:7], null, s9, v228, v[4:5]
	v_mov_b32_e32 v2, v5
	v_lshlrev_b64 v[1:2], 4, v[1:2]
	v_mov_b32_e32 v4, v6
	v_add_co_u32 v1, vcc_lo, s18, v1
	v_lshlrev_b64 v[3:4], 4, v[3:4]
	v_add_co_ci_u32_e32 v2, vcc_lo, s19, v2, vcc_lo
	v_add_co_u32 v1, vcc_lo, v1, v3
	v_add_co_ci_u32_e32 v2, vcc_lo, v2, v4, vcc_lo
	v_add_co_u32 v5, vcc_lo, v1, s6
	;; [unrolled: 2-line block ×5, first 2 shown]
	v_add_co_ci_u32_e32 v8, vcc_lo, 0, v24, vcc_lo
	v_mad_u64_u32 v[13:14], null, 0xffffdb70, s8, v[9:10]
	v_add_co_u32 v11, vcc_lo, 0x1800, v23
	v_add_co_ci_u32_e32 v12, vcc_lo, 0, v24, vcc_lo
	v_add_co_u32 v15, vcc_lo, 0x3000, v23
	v_add_co_ci_u32_e32 v16, vcc_lo, 0, v24, vcc_lo
	v_add_nc_u32_e32 v14, s0, v14
	v_add_co_u32 v17, vcc_lo, 0x800, v23
	v_add_co_ci_u32_e32 v18, vcc_lo, 0, v24, vcc_lo
	v_add_co_u32 v19, vcc_lo, v13, s6
	v_add_co_ci_u32_e32 v20, vcc_lo, s1, v14, vcc_lo
	;; [unrolled: 2-line block ×5, first 2 shown]
	v_mad_u64_u32 v[25:26], null, 0xffffdb70, s8, v[21:22]
	s_clause 0x4
	global_load_dwordx4 v[93:96], v[3:4], off offset:1520
	global_load_dwordx4 v[89:92], v[7:8], off offset:992
	;; [unrolled: 1-line block ×5, first 2 shown]
	s_clause 0x4
	global_load_dwordx4 v[1:4], v[1:2], off
	global_load_dwordx4 v[5:8], v[5:6], off
	;; [unrolled: 1-line block ×6, first 2 shown]
	v_add_nc_u32_e32 v26, s0, v26
	v_add_co_u32 v31, vcc_lo, v25, s6
	v_add_co_ci_u32_e32 v32, vcc_lo, s1, v26, vcc_lo
	v_add_co_u32 v35, vcc_lo, v31, s6
	v_add_co_ci_u32_e32 v36, vcc_lo, s1, v32, vcc_lo
	global_load_dwordx4 v[25:28], v[25:26], off
	global_load_dwordx4 v[97:100], v[29:30], off offset:1168
	global_load_dwordx4 v[29:32], v[31:32], off
	global_load_dwordx4 v[101:104], v[33:34], off offset:640
	global_load_dwordx4 v[33:36], v[35:36], off
	s_mov_b32 s0, 0xe8584caa
	s_mov_b32 s1, 0x3febb67a
	;; [unrolled: 1-line block ×3, first 2 shown]
	v_cmp_gt_u16_e32 vcc_lo, 0x51, v0
	s_waitcnt vmcnt(10)
	v_mul_f64 v[37:38], v[3:4], v[226:227]
	s_waitcnt vmcnt(9)
	v_mul_f64 v[41:42], v[7:8], v[95:96]
	;; [unrolled: 2-line block ×6, first 2 shown]
	v_mul_f64 v[43:44], v[5:6], v[95:96]
	v_mul_f64 v[47:48], v[9:10], v[91:92]
	;; [unrolled: 1-line block ×6, first 2 shown]
	s_waitcnt vmcnt(4)
	v_mul_f64 v[61:62], v[27:28], v[79:80]
	v_mul_f64 v[63:64], v[25:26], v[79:80]
	s_waitcnt vmcnt(2)
	v_mul_f64 v[65:66], v[31:32], v[99:100]
	v_mul_f64 v[67:68], v[29:30], v[99:100]
	s_waitcnt vmcnt(0)
	v_mul_f64 v[69:70], v[35:36], v[103:104]
	v_mul_f64 v[71:72], v[33:34], v[103:104]
	v_fma_f64 v[1:2], v[1:2], v[224:225], v[37:38]
	v_fma_f64 v[5:6], v[5:6], v[93:94], v[41:42]
	buffer_store_dword v93, off, s[48:51], 0 offset:80 ; 4-byte Folded Spill
	buffer_store_dword v94, off, s[48:51], 0 offset:84 ; 4-byte Folded Spill
	;; [unrolled: 1-line block ×4, first 2 shown]
	v_fma_f64 v[9:10], v[9:10], v[89:90], v[45:46]
	buffer_store_dword v89, off, s[48:51], 0 offset:64 ; 4-byte Folded Spill
	buffer_store_dword v90, off, s[48:51], 0 offset:68 ; 4-byte Folded Spill
	;; [unrolled: 1-line block ×4, first 2 shown]
	v_fma_f64 v[13:14], v[13:14], v[73:74], v[49:50]
	buffer_store_dword v73, off, s[48:51], 0 ; 4-byte Folded Spill
	buffer_store_dword v74, off, s[48:51], 0 offset:4 ; 4-byte Folded Spill
	buffer_store_dword v75, off, s[48:51], 0 offset:8 ; 4-byte Folded Spill
	;; [unrolled: 1-line block ×3, first 2 shown]
	v_fma_f64 v[17:18], v[17:18], v[85:86], v[53:54]
	buffer_store_dword v85, off, s[48:51], 0 offset:48 ; 4-byte Folded Spill
	buffer_store_dword v86, off, s[48:51], 0 offset:52 ; 4-byte Folded Spill
	;; [unrolled: 1-line block ×4, first 2 shown]
	v_fma_f64 v[21:22], v[21:22], v[81:82], v[57:58]
	buffer_store_dword v81, off, s[48:51], 0 offset:32 ; 4-byte Folded Spill
	buffer_store_dword v82, off, s[48:51], 0 offset:36 ; 4-byte Folded Spill
	;; [unrolled: 1-line block ×4, first 2 shown]
	v_fma_f64 v[3:4], v[3:4], v[224:225], -v[39:40]
	v_and_b32_e32 v41, 0xff, v176
	v_mov_b32_e32 v45, 0xaaab
	v_fma_f64 v[25:26], v[25:26], v[77:78], v[61:62]
	buffer_store_dword v77, off, s[48:51], 0 offset:16 ; 4-byte Folded Spill
	buffer_store_dword v78, off, s[48:51], 0 offset:20 ; 4-byte Folded Spill
	buffer_store_dword v79, off, s[48:51], 0 offset:24 ; 4-byte Folded Spill
	buffer_store_dword v80, off, s[48:51], 0 offset:28 ; 4-byte Folded Spill
	v_fma_f64 v[29:30], v[29:30], v[97:98], v[65:66]
	buffer_store_dword v97, off, s[48:51], 0 offset:96 ; 4-byte Folded Spill
	buffer_store_dword v98, off, s[48:51], 0 offset:100 ; 4-byte Folded Spill
	buffer_store_dword v99, off, s[48:51], 0 offset:104 ; 4-byte Folded Spill
	buffer_store_dword v100, off, s[48:51], 0 offset:108 ; 4-byte Folded Spill
	;; [unrolled: 5-line block ×3, first 2 shown]
	s_load_dwordx4 s[8:11], s[2:3], 0x0
	v_mul_u32_u24_sdwa v49, v223, v45 dst_sel:DWORD dst_unused:UNUSED_PAD src0_sel:WORD_0 src1_sel:DWORD
	v_mul_lo_u16 v61, v0, 3
	s_load_dwordx2 s[2:3], s[4:5], 0x38
	v_fma_f64 v[7:8], v[7:8], v[93:94], -v[43:44]
	v_fma_f64 v[11:12], v[11:12], v[89:90], -v[47:48]
	v_mul_lo_u16 v47, 0xab, v41
	v_fma_f64 v[15:16], v[15:16], v[73:74], -v[51:52]
	v_lshrrev_b32_e32 v89, 17, v49
	v_fma_f64 v[19:20], v[19:20], v[85:86], -v[55:56]
	v_mov_b32_e32 v86, 4
	v_fma_f64 v[23:24], v[23:24], v[81:82], -v[59:60]
	v_lshrrev_b16 v88, 9, v47
	v_lshlrev_b32_sdwa v254, v86, v61 dst_sel:DWORD dst_unused:UNUSED_PAD src0_sel:DWORD src1_sel:WORD_0
	v_fma_f64 v[27:28], v[27:28], v[77:78], -v[63:64]
	v_mul_lo_u16 v63, v88, 3
	v_fma_f64 v[31:32], v[31:32], v[97:98], -v[67:68]
	v_fma_f64 v[35:36], v[35:36], v[101:102], -v[71:72]
	ds_write_b128 v255, v[1:4]
	ds_write_b128 v255, v[5:8] offset:5616
	ds_write_b128 v255, v[9:12] offset:11232
	ds_write_b128 v255, v[13:16] offset:1872
	ds_write_b128 v255, v[17:20] offset:7488
	ds_write_b128 v255, v[21:24] offset:13104
	ds_write_b128 v255, v[25:28] offset:3744
	ds_write_b128 v255, v[29:32] offset:9360
	ds_write_b128 v255, v[33:36] offset:14976
	s_waitcnt lgkmcnt(0)
	s_waitcnt_vscnt null, 0x0
	s_barrier
	buffer_gl0_inv
	ds_read_b128 v[1:4], v255 offset:5616
	ds_read_b128 v[5:8], v255 offset:11232
	;; [unrolled: 1-line block ×6, first 2 shown]
	v_and_b32_e32 v25, 0xff, v0
	v_sub_nc_u16 v61, v176, v63
	v_mul_lo_u16 v43, 0xab, v25
	ds_read_b128 v[25:28], v255
	ds_read_b128 v[29:32], v255 offset:1872
	ds_read_b128 v[33:36], v255 offset:3744
	v_and_b32_e32 v91, 0xff, v61
	s_waitcnt lgkmcnt(0)
	v_lshrrev_b16 v87, 9, v43
	s_barrier
	buffer_gl0_inv
	v_mul_lo_u16 v62, v87, 3
	v_add_f64 v[37:38], v[1:2], v[5:6]
	v_add_f64 v[39:40], v[3:4], v[7:8]
	;; [unrolled: 1-line block ×6, first 2 shown]
	v_add_f64 v[51:52], v[3:4], -v[7:8]
	v_add_f64 v[49:50], v[25:26], v[1:2]
	v_add_f64 v[3:4], v[27:28], v[3:4]
	;; [unrolled: 1-line block ×6, first 2 shown]
	v_fma_f64 v[25:26], v[37:38], -0.5, v[25:26]
	v_add_f64 v[37:38], v[1:2], -v[5:6]
	v_fma_f64 v[27:28], v[39:40], -0.5, v[27:28]
	v_add_f64 v[39:40], v[15:16], -v[11:12]
	;; [unrolled: 2-line block ×5, first 2 shown]
	v_fma_f64 v[35:36], v[47:48], -0.5, v[35:36]
	v_add_f64 v[1:2], v[49:50], v[5:6]
	v_add_f64 v[3:4], v[3:4], v[7:8]
	v_add_f64 v[5:6], v[53:54], v[9:10]
	v_add_f64 v[7:8], v[55:56], v[11:12]
	v_add_f64 v[9:10], v[57:58], v[21:22]
	v_add_f64 v[11:12], v[59:60], v[23:24]
	v_mul_lo_u16 v48, v89, 3
	v_sub_nc_u16 v47, v0, v62
	v_fma_f64 v[13:14], v[51:52], s[0:1], v[25:26]
	v_fma_f64 v[17:18], v[51:52], s[6:7], v[25:26]
	;; [unrolled: 1-line block ×12, first 2 shown]
	v_mul_u32_u24_e32 v38, 3, v223
	v_sub_nc_u16 v90, v223, v48
	v_mul_u32_u24_e32 v37, 3, v176
	v_and_b32_e32 v43, 0xff, v47
	v_lshlrev_b32_e32 v39, 5, v91
	v_lshlrev_b32_e32 v252, 4, v38
	v_lshlrev_b16 v38, 1, v90
	v_lshlrev_b32_e32 v40, 4, v37
	v_lshlrev_b32_e32 v37, 5, v43
	ds_write_b128 v254, v[1:4]
	ds_write_b128 v254, v[13:16] offset:16
	ds_write_b128 v254, v[17:20] offset:32
	ds_write_b128 v40, v[5:8]
	ds_write_b128 v40, v[21:24] offset:16
	v_lshlrev_b32_sdwa v1, v86, v38 dst_sel:DWORD dst_unused:UNUSED_PAD src0_sel:DWORD src1_sel:WORD_0
	buffer_store_dword v40, off, s[48:51], 0 offset:128 ; 4-byte Folded Spill
	ds_write_b128 v40, v[25:28] offset:32
	ds_write_b128 v252, v[9:12]
	ds_write_b128 v252, v[29:32] offset:16
	ds_write_b128 v252, v[33:36] offset:32
	s_waitcnt lgkmcnt(0)
	s_waitcnt_vscnt null, 0x0
	s_barrier
	buffer_gl0_inv
	s_clause 0x5
	global_load_dwordx4 v[56:59], v37, s[14:15]
	global_load_dwordx4 v[52:55], v37, s[14:15] offset:16
	global_load_dwordx4 v[48:51], v39, s[14:15]
	global_load_dwordx4 v[44:47], v39, s[14:15] offset:16
	;; [unrolled: 2-line block ×3, first 2 shown]
	ds_read_b128 v[1:4], v255 offset:5616
	ds_read_b128 v[5:8], v255 offset:11232
	;; [unrolled: 1-line block ×7, first 2 shown]
	s_waitcnt vmcnt(3) lgkmcnt(4)
	v_mul_f64 v[37:38], v[11:12], v[50:51]
	v_mul_f64 v[29:30], v[3:4], v[58:59]
	;; [unrolled: 1-line block ×5, first 2 shown]
	s_waitcnt vmcnt(2) lgkmcnt(3)
	v_mul_f64 v[39:40], v[15:16], v[46:47]
	v_mul_f64 v[41:42], v[9:10], v[50:51]
	;; [unrolled: 1-line block ×3, first 2 shown]
	s_waitcnt vmcnt(1) lgkmcnt(2)
	v_mul_f64 v[70:71], v[19:20], v[66:67]
	s_waitcnt vmcnt(0) lgkmcnt(1)
	v_mul_f64 v[72:73], v[23:24], v[62:63]
	v_mul_f64 v[74:75], v[17:18], v[66:67]
	;; [unrolled: 1-line block ×3, first 2 shown]
	v_fma_f64 v[9:10], v[9:10], v[48:49], -v[37:38]
	v_fma_f64 v[29:30], v[1:2], v[56:57], -v[29:30]
	;; [unrolled: 1-line block ×3, first 2 shown]
	v_fma_f64 v[33:34], v[3:4], v[56:57], v[33:34]
	v_fma_f64 v[35:36], v[7:8], v[52:53], v[35:36]
	v_fma_f64 v[13:14], v[13:14], v[44:45], -v[39:40]
	v_fma_f64 v[11:12], v[11:12], v[48:49], v[41:42]
	v_fma_f64 v[15:16], v[15:16], v[44:45], v[68:69]
	v_fma_f64 v[17:18], v[17:18], v[64:65], -v[70:71]
	v_fma_f64 v[21:22], v[21:22], v[60:61], -v[72:73]
	v_fma_f64 v[19:20], v[19:20], v[64:65], v[74:75]
	v_fma_f64 v[23:24], v[23:24], v[60:61], v[76:77]
	ds_read_b128 v[1:4], v255
	ds_read_b128 v[5:8], v255 offset:1872
	s_waitcnt lgkmcnt(0)
	s_barrier
	buffer_gl0_inv
	v_add_f64 v[37:38], v[29:30], v[31:32]
	v_add_f64 v[39:40], v[33:34], v[35:36]
	v_add_f64 v[41:42], v[9:10], v[13:14]
	v_add_f64 v[76:77], v[33:34], -v[35:36]
	v_add_f64 v[68:69], v[11:12], v[15:16]
	v_add_f64 v[82:83], v[25:26], v[17:18]
	;; [unrolled: 1-line block ×9, first 2 shown]
	v_add_f64 v[29:30], v[29:30], -v[31:32]
	v_add_f64 v[11:12], v[11:12], -v[15:16]
	;; [unrolled: 1-line block ×5, first 2 shown]
	v_fma_f64 v[1:2], v[37:38], -0.5, v[1:2]
	v_mov_b32_e32 v37, 9
	v_fma_f64 v[3:4], v[39:40], -0.5, v[3:4]
	v_fma_f64 v[5:6], v[41:42], -0.5, v[5:6]
	;; [unrolled: 1-line block ×3, first 2 shown]
	v_add_f64 v[124:125], v[82:83], v[21:22]
	v_fma_f64 v[25:26], v[70:71], -0.5, v[25:26]
	v_add_f64 v[108:109], v[74:75], v[31:32]
	v_fma_f64 v[27:28], v[72:73], -0.5, v[27:28]
	v_add_f64 v[110:111], v[33:34], v[35:36]
	v_add_f64 v[112:113], v[78:79], v[13:14]
	;; [unrolled: 1-line block ×4, first 2 shown]
	v_fma_f64 v[136:137], v[76:77], s[0:1], v[1:2]
	v_fma_f64 v[140:141], v[76:77], s[6:7], v[1:2]
	;; [unrolled: 1-line block ×12, first 2 shown]
	v_mul_u32_u24_sdwa v3, v87, v37 dst_sel:DWORD dst_unused:UNUSED_PAD src0_sel:WORD_0 src1_sel:DWORD
	v_mad_u16 v4, v89, 9, v90
	v_mul_u32_u24_sdwa v5, v88, v37 dst_sel:DWORD dst_unused:UNUSED_PAD src0_sel:WORD_0 src1_sel:DWORD
	v_add_lshl_u32 v253, v3, v43, 4
	v_lshlrev_b32_sdwa v251, v86, v4 dst_sel:DWORD dst_unused:UNUSED_PAD src0_sel:DWORD src1_sel:WORD_0
	v_add_lshl_u32 v248, v5, v91, 4
	ds_write_b128 v253, v[108:111]
	ds_write_b128 v253, v[136:139] offset:48
	ds_write_b128 v253, v[140:143] offset:96
	ds_write_b128 v248, v[112:115]
	ds_write_b128 v248, v[116:119] offset:48
	ds_write_b128 v248, v[120:123] offset:96
	;; [unrolled: 3-line block ×3, first 2 shown]
	s_waitcnt lgkmcnt(0)
	s_barrier
	buffer_gl0_inv
	s_and_saveexec_b32 s0, vcc_lo
	s_cbranch_execz .LBB0_3
; %bb.2:
	ds_read_b128 v[108:111], v255
	ds_read_b128 v[136:139], v255 offset:1296
	ds_read_b128 v[140:143], v255 offset:2592
	;; [unrolled: 1-line block ×12, first 2 shown]
.LBB0_3:
	s_or_b32 exec_lo, exec_lo, s0
	v_and_b32_e32 v0, 0xff, v228
	s_mov_b32 s28, 0x42a4c3d2
	s_mov_b32 s29, 0xbfea55e2
	;; [unrolled: 1-line block ×4, first 2 shown]
	v_mul_lo_u16 v0, v0, 57
	s_mov_b32 s18, 0x4267c47c
	s_mov_b32 s19, 0xbfddbe06
	;; [unrolled: 1-line block ×4, first 2 shown]
	v_lshrrev_b16 v236, 9, v0
	s_mov_b32 s22, 0x66966769
	s_mov_b32 s23, 0xbfefc445
	;; [unrolled: 1-line block ×4, first 2 shown]
	v_mul_lo_u16 v0, v236, 9
	s_mov_b32 s20, 0x2ef20147
	s_mov_b32 s21, 0xbfedeba7
	s_mov_b32 s4, 0xb2365da1
	s_mov_b32 s5, 0xbfd6b1d8
	v_sub_nc_u16 v0, v228, v0
	s_mov_b32 s40, 0x24c2f84
	s_mov_b32 s41, 0x3fe5384d
	;; [unrolled: 1-line block ×4, first 2 shown]
	v_and_b32_e32 v247, 0xff, v0
	s_mov_b32 s24, 0xd0032e0c
	s_mov_b32 s25, 0xbfe7f3cc
	;; [unrolled: 1-line block ×4, first 2 shown]
	v_mad_u64_u32 v[0:1], null, 0xc0, v247, s[14:15]
	s_mov_b32 s26, 0x93053d00
	s_mov_b32 s27, 0xbfef11f4
	;; [unrolled: 1-line block ×6, first 2 shown]
	s_clause 0xb
	global_load_dwordx4 v[16:19], v[0:1], off offset:96
	global_load_dwordx4 v[40:43], v[0:1], off offset:272
	;; [unrolled: 1-line block ×12, first 2 shown]
	s_mov_b32 s35, 0x3fedeba7
	s_mov_b32 s34, s20
	;; [unrolled: 1-line block ×6, first 2 shown]
	s_waitcnt vmcnt(11) lgkmcnt(11)
	v_mul_f64 v[0:1], v[136:137], v[18:19]
	v_mul_f64 v[4:5], v[138:139], v[18:19]
	s_waitcnt vmcnt(9) lgkmcnt(10)
	v_mul_f64 v[8:9], v[140:141], v[102:103]
	s_waitcnt vmcnt(8) lgkmcnt(1)
	v_mul_f64 v[12:13], v[152:153], v[106:107]
	s_waitcnt lgkmcnt(0)
	v_mul_f64 v[6:7], v[158:159], v[42:43]
	v_mul_f64 v[10:11], v[142:143], v[102:103]
	;; [unrolled: 1-line block ×4, first 2 shown]
	s_waitcnt vmcnt(1)
	v_mul_f64 v[22:23], v[148:149], v[90:91]
	v_fma_f64 v[219:220], v[138:139], v[16:17], v[0:1]
	buffer_store_dword v16, off, s[48:51], 0 offset:132 ; 4-byte Folded Spill
	buffer_store_dword v17, off, s[48:51], 0 offset:136 ; 4-byte Folded Spill
	;; [unrolled: 1-line block ×4, first 2 shown]
	v_fma_f64 v[213:214], v[142:143], v[100:101], v[8:9]
	v_fma_f64 v[26:27], v[154:155], v[104:105], v[12:13]
	v_mul_f64 v[0:1], v[114:115], v[98:99]
	v_mul_f64 v[18:19], v[120:121], v[82:83]
	v_fma_f64 v[36:37], v[156:157], v[40:41], -v[6:7]
	v_mul_f64 v[6:7], v[122:123], v[82:83]
	v_fma_f64 v[211:212], v[140:141], v[100:101], -v[10:11]
	v_fma_f64 v[24:25], v[152:153], v[104:105], -v[14:15]
	v_mul_f64 v[14:15], v[130:131], v[74:75]
	v_fma_f64 v[38:39], v[158:159], v[40:41], v[2:3]
	v_mul_f64 v[2:3], v[112:113], v[98:99]
	v_mul_f64 v[8:9], v[126:127], v[70:71]
	;; [unrolled: 1-line block ×3, first 2 shown]
	v_add_f64 v[245:246], v[213:214], -v[26:27]
	v_fma_f64 v[239:240], v[112:113], v[96:97], -v[0:1]
	v_mul_f64 v[0:1], v[128:129], v[74:75]
	v_fma_f64 v[217:218], v[122:123], v[80:81], v[18:19]
	v_fma_f64 v[215:216], v[120:121], v[80:81], -v[6:7]
	v_mul_f64 v[6:7], v[150:151], v[90:91]
	v_fma_f64 v[128:129], v[128:129], v[72:73], -v[14:15]
	v_add_f64 v[12:13], v[219:220], -v[38:39]
	v_fma_f64 v[243:244], v[114:115], v[96:97], v[2:3]
	v_mul_f64 v[2:3], v[134:135], v[86:87]
	v_fma_f64 v[185:186], v[124:125], v[68:69], -v[8:9]
	s_waitcnt vmcnt(0)
	v_mul_f64 v[8:9], v[144:145], v[94:95]
	v_fma_f64 v[114:115], v[150:151], v[88:89], v[22:23]
	v_fma_f64 v[191:192], v[126:127], v[68:69], v[10:11]
	v_mul_f64 v[18:19], v[245:246], s[20:21]
	v_mul_f64 v[30:31], v[245:246], s[38:39]
	v_fma_f64 v[164:165], v[130:131], v[72:73], v[0:1]
	v_add_f64 v[130:131], v[211:212], v[24:25]
	v_mul_f64 v[0:1], v[146:147], v[94:95]
	v_fma_f64 v[112:113], v[148:149], v[88:89], -v[6:7]
	v_mul_f64 v[179:180], v[245:246], s[40:41]
	v_mul_f64 v[201:202], v[12:13], s[28:29]
	;; [unrolled: 1-line block ×3, first 2 shown]
	v_fma_f64 v[120:121], v[132:133], v[84:85], -v[2:3]
	v_add_f64 v[124:125], v[185:186], v[128:129]
	v_add_f64 v[197:198], v[185:186], -v[128:129]
	v_add_f64 v[241:242], v[243:244], -v[114:115]
	v_add_f64 v[172:173], v[243:244], v[114:115]
	v_add_f64 v[183:184], v[191:192], v[164:165]
	v_add_f64 v[233:234], v[239:240], -v[112:113]
	v_add_f64 v[177:178], v[215:216], v[120:121]
	v_add_f64 v[207:208], v[215:216], -v[120:121]
	v_mul_f64 v[28:29], v[241:242], s[34:35]
	v_mul_f64 v[170:171], v[241:242], s[36:37]
	;; [unrolled: 1-line block ×4, first 2 shown]
	v_fma_f64 v[221:222], v[136:137], v[16:17], -v[4:5]
	v_mul_f64 v[4:5], v[118:119], v[78:79]
	v_mul_f64 v[16:17], v[116:117], v[78:79]
	;; [unrolled: 1-line block ×3, first 2 shown]
	v_add_f64 v[20:21], v[221:222], v[36:37]
	v_fma_f64 v[229:230], v[116:117], v[76:77], -v[4:5]
	v_mul_f64 v[4:5], v[132:133], v[86:87]
	v_fma_f64 v[116:117], v[144:145], v[92:93], -v[0:1]
	v_fma_f64 v[231:232], v[118:119], v[76:77], v[16:17]
	v_mul_f64 v[16:17], v[12:13], s[18:19]
	v_add_f64 v[174:175], v[221:222], -v[36:37]
	v_add_f64 v[144:145], v[219:220], v[38:39]
	v_add_f64 v[132:133], v[239:240], v[112:113]
	v_fma_f64 v[118:119], v[146:147], v[92:93], v[8:9]
	v_add_f64 v[146:147], v[191:192], -v[164:165]
	v_mul_f64 v[8:9], v[233:234], s[38:39]
	v_fma_f64 v[122:123], v[134:135], v[84:85], v[4:5]
	v_mul_f64 v[4:5], v[245:246], s[28:29]
	v_add_f64 v[168:169], v[229:230], v[116:117]
	v_fma_f64 v[2:3], v[20:21], s[0:1], v[16:17]
	v_mul_f64 v[134:135], v[174:175], s[18:19]
	v_add_f64 v[199:200], v[229:230], -v[116:117]
	v_mul_f64 v[205:206], v[174:175], s[28:29]
	v_add_f64 v[237:238], v[231:232], -v[118:119]
	v_add_f64 v[187:188], v[231:232], v[118:119]
	v_mul_f64 v[138:139], v[174:175], s[22:23]
	v_mul_f64 v[142:143], v[146:147], s[46:47]
	;; [unrolled: 1-line block ×3, first 2 shown]
	buffer_store_dword v4, off, s[48:51], 0 offset:180 ; 4-byte Folded Spill
	buffer_store_dword v5, off, s[48:51], 0 offset:184 ; 4-byte Folded Spill
	;; [unrolled: 1-line block ×6, first 2 shown]
	v_add_f64 v[2:3], v[108:109], v[2:3]
	v_add_f64 v[181:182], v[217:218], -v[122:123]
	v_add_f64 v[193:194], v[217:218], v[122:123]
	v_mul_f64 v[10:11], v[237:238], s[36:37]
	v_mul_f64 v[14:15], v[199:200], s[36:37]
	;; [unrolled: 1-line block ×4, first 2 shown]
	v_fma_f64 v[0:1], v[130:131], s[16:17], v[4:5]
	v_add_f64 v[249:250], v[211:212], -v[24:25]
	v_add_f64 v[203:204], v[213:214], v[26:27]
	v_add_f64 v[0:1], v[0:1], v[2:3]
	v_mul_f64 v[4:5], v[249:250], s[28:29]
	v_fma_f64 v[2:3], v[144:145], s[0:1], -v[134:135]
	v_mul_f64 v[24:25], v[249:250], s[20:21]
	v_mul_f64 v[166:167], v[249:250], s[38:39]
	;; [unrolled: 1-line block ×3, first 2 shown]
	buffer_store_dword v4, off, s[48:51], 0 offset:236 ; 4-byte Folded Spill
	buffer_store_dword v5, off, s[48:51], 0 offset:240 ; 4-byte Folded Spill
	v_add_f64 v[2:3], v[110:111], v[2:3]
	v_fma_f64 v[4:5], v[203:204], s[16:17], -v[4:5]
	v_add_f64 v[2:3], v[4:5], v[2:3]
	v_mul_f64 v[4:5], v[241:242], s[22:23]
	buffer_store_dword v4, off, s[48:51], 0 offset:172 ; 4-byte Folded Spill
	buffer_store_dword v5, off, s[48:51], 0 offset:176 ; 4-byte Folded Spill
	v_fma_f64 v[4:5], v[132:133], s[6:7], v[4:5]
	v_add_f64 v[0:1], v[4:5], v[0:1]
	v_mul_f64 v[4:5], v[233:234], s[22:23]
	buffer_store_dword v4, off, s[48:51], 0 offset:204 ; 4-byte Folded Spill
	buffer_store_dword v5, off, s[48:51], 0 offset:208 ; 4-byte Folded Spill
	v_fma_f64 v[4:5], v[172:173], s[6:7], -v[4:5]
	v_add_f64 v[2:3], v[4:5], v[2:3]
	v_mul_f64 v[4:5], v[237:238], s[20:21]
	buffer_store_dword v4, off, s[48:51], 0 offset:196 ; 4-byte Folded Spill
	buffer_store_dword v5, off, s[48:51], 0 offset:200 ; 4-byte Folded Spill
	v_fma_f64 v[4:5], v[168:169], s[4:5], v[4:5]
	v_add_f64 v[0:1], v[4:5], v[0:1]
	v_mul_f64 v[4:5], v[199:200], s[20:21]
	buffer_store_dword v4, off, s[48:51], 0 offset:220 ; 4-byte Folded Spill
	buffer_store_dword v5, off, s[48:51], 0 offset:224 ; 4-byte Folded Spill
	;; [unrolled: 10-line block ×3, first 2 shown]
	v_fma_f64 v[4:5], v[193:194], s[24:25], -v[4:5]
	v_add_f64 v[2:3], v[4:5], v[2:3]
	v_mul_f64 v[4:5], v[146:147], s[38:39]
	buffer_store_dword v4, off, s[48:51], 0 offset:164 ; 4-byte Folded Spill
	buffer_store_dword v5, off, s[48:51], 0 offset:168 ; 4-byte Folded Spill
	v_fma_f64 v[4:5], v[124:125], s[26:27], v[4:5]
	v_add_f64 v[148:149], v[4:5], v[0:1]
	v_mul_f64 v[0:1], v[197:198], s[38:39]
	v_fma_f64 v[4:5], v[203:204], s[4:5], -v[24:25]
	buffer_store_dword v0, off, s[48:51], 0 offset:188 ; 4-byte Folded Spill
	buffer_store_dword v1, off, s[48:51], 0 offset:192 ; 4-byte Folded Spill
	v_fma_f64 v[0:1], v[183:184], s[26:27], -v[0:1]
	v_add_f64 v[150:151], v[0:1], v[2:3]
	v_fma_f64 v[0:1], v[20:21], s[16:17], v[201:202]
	v_fma_f64 v[2:3], v[130:131], s[4:5], v[18:19]
	v_add_f64 v[0:1], v[108:109], v[0:1]
	v_add_f64 v[0:1], v[2:3], v[0:1]
	v_fma_f64 v[2:3], v[144:145], s[16:17], -v[205:206]
	v_add_f64 v[2:3], v[110:111], v[2:3]
	v_add_f64 v[4:5], v[4:5], v[2:3]
	v_mul_f64 v[2:3], v[241:242], s[38:39]
	v_fma_f64 v[6:7], v[132:133], s[26:27], v[2:3]
	v_add_f64 v[0:1], v[6:7], v[0:1]
	v_fma_f64 v[6:7], v[172:173], s[26:27], -v[8:9]
	v_add_f64 v[4:5], v[6:7], v[4:5]
	v_mul_f64 v[6:7], v[237:238], s[40:41]
	buffer_store_dword v6, off, s[48:51], 0 offset:292 ; 4-byte Folded Spill
	buffer_store_dword v7, off, s[48:51], 0 offset:296 ; 4-byte Folded Spill
	v_fma_f64 v[6:7], v[168:169], s[24:25], v[6:7]
	v_add_f64 v[0:1], v[6:7], v[0:1]
	v_mul_f64 v[6:7], v[199:200], s[40:41]
	buffer_store_dword v6, off, s[48:51], 0 offset:300 ; 4-byte Folded Spill
	buffer_store_dword v7, off, s[48:51], 0 offset:304 ; 4-byte Folded Spill
	v_fma_f64 v[6:7], v[187:188], s[24:25], -v[6:7]
	v_add_f64 v[4:5], v[6:7], v[4:5]
	v_mul_f64 v[6:7], v[181:182], s[30:31]
	buffer_store_dword v6, off, s[48:51], 0 offset:276 ; 4-byte Folded Spill
	buffer_store_dword v7, off, s[48:51], 0 offset:280 ; 4-byte Folded Spill
	v_fma_f64 v[6:7], v[177:178], s[6:7], v[6:7]
	v_add_f64 v[0:1], v[6:7], v[0:1]
	v_mul_f64 v[6:7], v[207:208], s[30:31]
	buffer_store_dword v6, off, s[48:51], 0 offset:284 ; 4-byte Folded Spill
	buffer_store_dword v7, off, s[48:51], 0 offset:288 ; 4-byte Folded Spill
	;; [unrolled: 10-line block ×3, first 2 shown]
	v_fma_f64 v[6:7], v[203:204], s[26:27], -v[166:167]
	v_fma_f64 v[0:1], v[183:184], s[0:1], -v[0:1]
	v_add_f64 v[162:163], v[0:1], v[4:5]
	v_fma_f64 v[0:1], v[20:21], s[6:7], v[209:210]
	v_fma_f64 v[4:5], v[130:131], s[26:27], v[30:31]
	v_add_f64 v[0:1], v[108:109], v[0:1]
	v_add_f64 v[0:1], v[4:5], v[0:1]
	v_fma_f64 v[4:5], v[144:145], s[6:7], -v[138:139]
	v_add_f64 v[4:5], v[110:111], v[4:5]
	v_add_f64 v[4:5], v[6:7], v[4:5]
	v_fma_f64 v[6:7], v[132:133], s[4:5], v[28:29]
	v_add_f64 v[0:1], v[6:7], v[0:1]
	v_fma_f64 v[6:7], v[172:173], s[4:5], -v[32:33]
	v_add_f64 v[4:5], v[6:7], v[4:5]
	v_fma_f64 v[6:7], v[168:169], s[0:1], v[10:11]
	v_add_f64 v[6:7], v[6:7], v[0:1]
	v_fma_f64 v[0:1], v[187:188], s[0:1], -v[14:15]
	v_add_f64 v[22:23], v[0:1], v[4:5]
	v_mul_f64 v[0:1], v[181:182], s[28:29]
	v_fma_f64 v[4:5], v[177:178], s[16:17], v[0:1]
	v_add_f64 v[6:7], v[4:5], v[6:7]
	v_mul_f64 v[4:5], v[207:208], s[28:29]
	v_fma_f64 v[26:27], v[193:194], s[16:17], -v[4:5]
	v_add_f64 v[22:23], v[26:27], v[22:23]
	v_mul_f64 v[26:27], v[146:147], s[42:43]
	buffer_store_dword v26, off, s[48:51], 0 offset:260 ; 4-byte Folded Spill
	buffer_store_dword v27, off, s[48:51], 0 offset:264 ; 4-byte Folded Spill
	v_fma_f64 v[26:27], v[124:125], s[24:25], v[26:27]
	v_add_f64 v[152:153], v[26:27], v[6:7]
	v_mul_f64 v[6:7], v[197:198], s[42:43]
	buffer_store_dword v6, off, s[48:51], 0 offset:268 ; 4-byte Folded Spill
	buffer_store_dword v7, off, s[48:51], 0 offset:272 ; 4-byte Folded Spill
	;; [unrolled: 1-line block ×4, first 2 shown]
	v_fma_f64 v[26:27], v[203:204], s[24:25], -v[195:196]
	s_waitcnt_vscnt null, 0x0
	s_barrier
	buffer_gl0_inv
	v_fma_f64 v[6:7], v[183:184], s[24:25], -v[6:7]
	v_add_f64 v[154:155], v[6:7], v[22:23]
	v_fma_f64 v[6:7], v[20:21], s[4:5], v[136:137]
	v_fma_f64 v[22:23], v[130:131], s[24:25], v[179:180]
	v_add_f64 v[6:7], v[108:109], v[6:7]
	v_add_f64 v[6:7], v[22:23], v[6:7]
	v_fma_f64 v[22:23], v[144:145], s[4:5], -v[140:141]
	v_add_f64 v[22:23], v[110:111], v[22:23]
	v_add_f64 v[22:23], v[26:27], v[22:23]
	v_fma_f64 v[26:27], v[132:133], s[0:1], v[170:171]
	v_add_f64 v[6:7], v[26:27], v[6:7]
	v_fma_f64 v[26:27], v[172:173], s[0:1], -v[189:190]
	v_add_f64 v[22:23], v[26:27], v[22:23]
	v_fma_f64 v[26:27], v[168:169], s[6:7], v[34:35]
	v_add_f64 v[6:7], v[26:27], v[6:7]
	v_fma_f64 v[26:27], v[187:188], s[6:7], -v[126:127]
	v_add_f64 v[156:157], v[26:27], v[22:23]
	v_mul_f64 v[22:23], v[181:182], s[44:45]
	v_fma_f64 v[26:27], v[177:178], s[26:27], v[22:23]
	v_add_f64 v[6:7], v[26:27], v[6:7]
	v_mul_f64 v[26:27], v[207:208], s[44:45]
	v_fma_f64 v[158:159], v[193:194], s[26:27], -v[26:27]
	v_add_f64 v[158:159], v[158:159], v[156:157]
	v_fma_f64 v[156:157], v[124:125], s[16:17], v[142:143]
	v_add_f64 v[156:157], v[156:157], v[6:7]
	v_mul_f64 v[6:7], v[197:198], s[46:47]
	v_fma_f64 v[142:143], v[183:184], s[16:17], -v[6:7]
	v_add_f64 v[158:159], v[142:143], v[158:159]
	s_and_saveexec_b32 s33, vcc_lo
	s_cbranch_execz .LBB0_5
; %bb.4:
	buffer_store_dword v224, off, s[48:51], 0 offset:316 ; 4-byte Folded Spill
	buffer_store_dword v225, off, s[48:51], 0 offset:320 ; 4-byte Folded Spill
	;; [unrolled: 1-line block ×4, first 2 shown]
	v_mul_f64 v[142:143], v[144:145], s[26:27]
	v_mul_f64 v[226:227], v[144:145], s[24:25]
	buffer_store_dword v228, off, s[48:51], 0 offset:332 ; 4-byte Folded Spill
	v_mov_b32_e32 v228, v235
	buffer_store_dword v236, off, s[48:51], 0 offset:336 ; 4-byte Folded Spill
	buffer_store_dword v36, off, s[48:51], 0 offset:340 ; 4-byte Folded Spill
	;; [unrolled: 1-line block ×3, first 2 shown]
	v_mov_b32_e32 v36, v253
	v_mov_b32_e32 v253, v251
	;; [unrolled: 1-line block ×6, first 2 shown]
	v_fma_f64 v[224:225], v[174:175], s[44:45], v[142:143]
	v_fma_f64 v[142:143], v[174:175], s[38:39], v[142:143]
	;; [unrolled: 1-line block ×4, first 2 shown]
	v_mul_f64 v[226:227], v[144:145], s[4:5]
	v_add_f64 v[142:143], v[110:111], v[142:143]
	v_add_f64 v[174:175], v[110:111], v[174:175]
	;; [unrolled: 1-line block ×3, first 2 shown]
	v_mul_f64 v[226:227], v[20:21], s[4:5]
	v_add_f64 v[140:141], v[110:111], v[140:141]
	v_add_f64 v[136:137], v[226:227], -v[136:137]
	v_mul_f64 v[226:227], v[144:145], s[6:7]
	v_add_f64 v[136:137], v[108:109], v[136:137]
	v_add_f64 v[138:139], v[138:139], v[226:227]
	v_mul_f64 v[226:227], v[20:21], s[6:7]
	v_add_f64 v[138:139], v[110:111], v[138:139]
	v_add_f64 v[209:210], v[226:227], -v[209:210]
	v_mul_f64 v[226:227], v[144:145], s[16:17]
	v_mul_f64 v[144:145], v[144:145], s[0:1]
	v_add_f64 v[209:210], v[108:109], v[209:210]
	v_add_f64 v[205:206], v[205:206], v[226:227]
	v_mul_f64 v[226:227], v[20:21], s[16:17]
	v_add_f64 v[134:135], v[134:135], v[144:145]
	v_mul_f64 v[144:145], v[12:13], s[38:39]
	v_mul_f64 v[12:13], v[12:13], s[42:43]
	v_add_f64 v[205:206], v[110:111], v[205:206]
	v_add_f64 v[201:202], v[226:227], -v[201:202]
	v_fma_f64 v[226:227], v[20:21], s[26:27], v[144:145]
	v_fma_f64 v[144:145], v[20:21], s[26:27], -v[144:145]
	v_fma_f64 v[247:248], v[20:21], s[24:25], v[12:13]
	v_fma_f64 v[12:13], v[20:21], s[24:25], -v[12:13]
	v_mul_f64 v[20:21], v[20:21], s[0:1]
	v_add_f64 v[201:202], v[108:109], v[201:202]
	v_add_f64 v[144:145], v[108:109], v[144:145]
	;; [unrolled: 1-line block ×3, first 2 shown]
	v_add_f64 v[16:17], v[20:21], -v[16:17]
	v_add_f64 v[20:21], v[110:111], v[219:220]
	v_add_f64 v[219:220], v[108:109], v[221:222]
	;; [unrolled: 1-line block ×6, first 2 shown]
	v_mul_f64 v[134:135], v[203:204], s[0:1]
	v_add_f64 v[235:236], v[108:109], v[247:248]
	v_mov_b32_e32 v248, v252
	v_mov_b32_e32 v252, v254
	;; [unrolled: 1-line block ×6, first 2 shown]
	v_add_f64 v[16:17], v[108:109], v[16:17]
	v_add_f64 v[20:21], v[20:21], v[213:214]
	;; [unrolled: 1-line block ×3, first 2 shown]
	v_mul_f64 v[213:214], v[245:246], s[36:37]
	v_fma_f64 v[211:212], v[249:250], s[18:19], v[134:135]
	v_fma_f64 v[134:135], v[249:250], s[36:37], v[134:135]
	v_add_f64 v[20:21], v[20:21], v[243:244]
	v_add_f64 v[108:109], v[108:109], v[239:240]
	v_fma_f64 v[219:220], v[130:131], s[0:1], v[213:214]
	v_add_f64 v[211:212], v[211:212], v[221:222]
	v_mul_f64 v[221:222], v[245:246], s[30:31]
	v_add_f64 v[134:135], v[134:135], v[142:143]
	v_fma_f64 v[142:143], v[130:131], s[0:1], -v[213:214]
	v_add_f64 v[20:21], v[20:21], v[231:232]
	v_add_f64 v[108:109], v[108:109], v[229:230]
	;; [unrolled: 1-line block ×3, first 2 shown]
	v_fma_f64 v[224:225], v[130:131], s[6:7], v[221:222]
	v_add_f64 v[142:143], v[142:143], v[144:145]
	v_mul_f64 v[144:145], v[203:204], s[6:7]
	v_add_f64 v[20:21], v[20:21], v[217:218]
	v_add_f64 v[108:109], v[108:109], v[215:216]
	;; [unrolled: 1-line block ×3, first 2 shown]
	s_clause 0x2
	buffer_load_dword v236, off, s[48:51], 0 offset:336
	buffer_load_dword v36, off, s[48:51], 0 offset:236
	buffer_load_dword v37, off, s[48:51], 0 offset:240
	v_fma_f64 v[213:214], v[249:250], s[22:23], v[144:145]
	v_mov_b32_e32 v235, v228
	v_fma_f64 v[144:145], v[249:250], s[30:31], v[144:145]
	v_add_f64 v[20:21], v[20:21], v[191:192]
	v_add_f64 v[108:109], v[108:109], v[185:186]
	v_mul_f64 v[185:186], v[130:131], s[24:25]
	v_mul_f64 v[191:192], v[193:194], s[4:5]
	v_add_f64 v[213:214], v[213:214], v[226:227]
	v_mul_f64 v[226:227], v[203:204], s[24:25]
	v_add_f64 v[144:145], v[144:145], v[174:175]
	;; [unrolled: 2-line block ×3, first 2 shown]
	v_add_f64 v[108:109], v[108:109], v[128:129]
	v_add_f64 v[179:180], v[185:186], -v[179:180]
	v_mul_f64 v[185:186], v[203:204], s[26:27]
	v_mul_f64 v[128:129], v[130:131], s[16:17]
	v_fma_f64 v[164:165], v[130:131], s[6:7], -v[221:222]
	v_add_f64 v[195:196], v[195:196], v[226:227]
	v_mul_f64 v[226:227], v[172:173], s[24:25]
	v_add_f64 v[174:175], v[189:190], v[174:175]
	v_mul_f64 v[189:190], v[187:188], s[16:17]
	v_add_f64 v[20:21], v[20:21], v[122:123]
	v_add_f64 v[108:109], v[108:109], v[120:121]
	;; [unrolled: 1-line block ×4, first 2 shown]
	v_mul_f64 v[185:186], v[203:204], s[4:5]
	v_mul_f64 v[136:137], v[187:188], s[6:7]
	v_add_f64 v[12:13], v[164:165], v[12:13]
	v_mul_f64 v[164:165], v[168:169], s[4:5]
	v_add_f64 v[140:141], v[195:196], v[140:141]
	v_fma_f64 v[228:229], v[233:234], s[40:41], v[226:227]
	v_fma_f64 v[226:227], v[233:234], s[42:43], v[226:227]
	;; [unrolled: 1-line block ×6, first 2 shown]
	v_add_f64 v[20:21], v[20:21], v[118:119]
	v_add_f64 v[108:109], v[108:109], v[116:117]
	;; [unrolled: 1-line block ×4, first 2 shown]
	v_mul_f64 v[185:186], v[130:131], s[4:5]
	v_mul_f64 v[166:167], v[132:133], s[4:5]
	;; [unrolled: 1-line block ×3, first 2 shown]
	v_add_f64 v[126:127], v[126:127], v[136:137]
	v_add_f64 v[136:137], v[174:175], v[140:141]
	;; [unrolled: 1-line block ×3, first 2 shown]
	v_mul_f64 v[228:229], v[241:242], s[42:43]
	v_add_f64 v[134:135], v[226:227], v[134:135]
	v_mul_f64 v[140:141], v[168:169], s[6:7]
	v_add_f64 v[20:21], v[20:21], v[114:115]
	;; [unrolled: 2-line block ×4, first 2 shown]
	v_add_f64 v[18:19], v[185:186], -v[18:19]
	v_mul_f64 v[185:186], v[203:204], s[16:17]
	v_add_f64 v[28:29], v[166:167], -v[28:29]
	v_mul_f64 v[166:167], v[172:173], s[26:27]
	;; [unrolled: 2-line block ×3, first 2 shown]
	v_mul_f64 v[203:204], v[181:182], s[20:21]
	v_add_f64 v[211:212], v[217:218], v[211:212]
	v_fma_f64 v[226:227], v[132:133], s[24:25], -v[228:229]
	v_fma_f64 v[230:231], v[132:133], s[24:25], v[228:229]
	v_add_f64 v[34:35], v[140:141], -v[34:35]
	v_mul_f64 v[140:141], v[187:188], s[0:1]
	v_mul_f64 v[217:218], v[237:238], s[46:47]
	v_add_f64 v[134:135], v[189:190], v[134:135]
	v_add_f64 v[18:19], v[18:19], v[201:202]
	;; [unrolled: 1-line block ×3, first 2 shown]
	v_mul_f64 v[166:167], v[132:133], s[26:27]
	v_add_f64 v[130:131], v[130:131], -v[170:171]
	v_mul_f64 v[170:171], v[172:173], s[4:5]
	v_add_f64 v[30:31], v[30:31], v[209:210]
	v_add_f64 v[142:143], v[226:227], v[142:143]
	v_mul_f64 v[226:227], v[172:173], s[16:17]
	v_add_f64 v[219:220], v[230:231], v[219:220]
	v_add_f64 v[14:15], v[14:15], v[140:141]
	v_mul_f64 v[140:141], v[187:188], s[4:5]
	v_fma_f64 v[189:190], v[168:169], s[16:17], -v[217:218]
	v_add_f64 v[195:196], v[195:196], v[211:212]
	v_fma_f64 v[211:212], v[177:178], s[4:5], v[203:204]
	v_add_f64 v[134:135], v[191:192], v[134:135]
	v_fma_f64 v[191:192], v[177:178], s[4:5], -v[203:204]
	v_add_f64 v[8:9], v[8:9], v[24:25]
	v_add_f64 v[2:3], v[166:167], -v[2:3]
	v_mul_f64 v[166:167], v[172:173], s[6:7]
	v_add_f64 v[32:33], v[32:33], v[170:171]
	v_mul_f64 v[24:25], v[168:169], s[24:25]
	v_fma_f64 v[228:229], v[233:234], s[46:47], v[226:227]
	v_fma_f64 v[215:216], v[233:234], s[28:29], v[226:227]
	v_fma_f64 v[226:227], v[168:169], s[16:17], v[217:218]
	v_add_f64 v[142:143], v[189:190], v[142:143]
	v_mul_f64 v[189:190], v[187:188], s[26:27]
	v_add_f64 v[2:3], v[2:3], v[18:19]
	v_add_f64 v[18:19], v[28:29], v[30:31]
	;; [unrolled: 1-line block ×3, first 2 shown]
	v_mul_f64 v[138:139], v[168:169], s[0:1]
	v_add_f64 v[28:29], v[130:131], v[120:121]
	v_add_f64 v[213:214], v[228:229], v[213:214]
	v_mul_f64 v[228:229], v[241:242], s[28:29]
	v_mul_f64 v[120:121], v[193:194], s[26:27]
	v_add_f64 v[219:220], v[226:227], v[219:220]
	v_mul_f64 v[30:31], v[193:194], s[0:1]
	v_fma_f64 v[122:123], v[199:200], s[44:45], v[189:190]
	v_fma_f64 v[217:218], v[199:200], s[38:39], v[189:190]
	v_add_f64 v[142:143], v[191:192], v[142:143]
	v_add_f64 v[14:15], v[14:15], v[32:33]
	v_add_f64 v[10:11], v[138:139], -v[10:11]
	v_mul_f64 v[138:139], v[187:188], s[24:25]
	v_mul_f64 v[32:33], v[177:178], s[16:17]
	v_fma_f64 v[230:231], v[132:133], s[16:17], v[228:229]
	v_fma_f64 v[170:171], v[132:133], s[16:17], -v[228:229]
	v_mul_f64 v[132:133], v[132:133], s[6:7]
	v_add_f64 v[26:27], v[26:27], v[120:121]
	v_add_f64 v[120:121], v[126:127], v[136:137]
	v_mul_f64 v[126:127], v[193:194], s[24:25]
	v_mul_f64 v[136:137], v[183:184], s[16:17]
	v_add_f64 v[213:214], v[217:218], v[213:214]
	v_mul_f64 v[217:218], v[237:238], s[44:45]
	v_fma_f64 v[116:117], v[207:208], s[18:19], v[30:31]
	v_fma_f64 v[30:31], v[207:208], s[36:37], v[30:31]
	v_add_f64 v[211:212], v[211:212], v[219:220]
	v_add_f64 v[10:11], v[10:11], v[18:19]
	;; [unrolled: 1-line block ×3, first 2 shown]
	v_add_f64 v[0:1], v[32:33], -v[0:1]
	v_mul_f64 v[32:33], v[193:194], s[6:7]
	v_add_f64 v[12:13], v[170:171], v[12:13]
	v_add_f64 v[224:225], v[230:231], v[224:225]
	v_fma_f64 v[28:29], v[197:198], s[22:23], v[114:115]
	v_add_f64 v[26:27], v[26:27], v[120:121]
	v_mul_f64 v[120:121], v[124:125], s[0:1]
	v_add_f64 v[136:137], v[6:7], v[136:137]
	v_mul_f64 v[6:7], v[124:125], s[24:25]
	v_fma_f64 v[226:227], v[168:169], s[26:27], v[217:218]
	v_fma_f64 v[34:35], v[197:198], s[30:31], v[114:115]
	;; [unrolled: 1-line block ×4, first 2 shown]
	v_add_f64 v[116:117], v[116:117], v[213:214]
	v_add_f64 v[224:225], v[226:227], v[224:225]
	s_waitcnt vmcnt(0)
	v_add_f64 v[185:186], v[36:37], v[185:186]
	s_clause 0x1
	buffer_load_dword v36, off, s[48:51], 0 offset:180
	buffer_load_dword v37, off, s[48:51], 0 offset:184
	v_add_f64 v[110:111], v[185:186], v[110:111]
	s_waitcnt vmcnt(0)
	v_add_f64 v[128:129], v[128:129], -v[36:37]
	s_clause 0x2
	buffer_load_dword v36, off, s[48:51], 0 offset:204
	buffer_load_dword v37, off, s[48:51], 0 offset:208
	;; [unrolled: 1-line block ×3, first 2 shown]
	v_add_f64 v[16:17], v[128:129], v[16:17]
	v_add_f64 v[128:129], v[215:216], v[144:145]
	v_fma_f64 v[144:145], v[168:169], s[26:27], -v[217:218]
	v_add_f64 v[118:119], v[122:123], v[128:129]
	v_mul_f64 v[122:123], v[177:178], s[26:27]
	v_add_f64 v[12:13], v[144:145], v[12:13]
	v_mul_f64 v[144:145], v[146:147], s[20:21]
	v_mul_f64 v[128:129], v[181:182], s[36:37]
	v_add_f64 v[30:31], v[30:31], v[118:119]
	v_add_f64 v[22:23], v[122:123], -v[22:23]
	v_mul_f64 v[122:123], v[193:194], s[16:17]
	v_mul_f64 v[118:119], v[183:184], s[24:25]
	v_fma_f64 v[130:131], v[177:178], s[0:1], v[128:129]
	v_fma_f64 v[128:129], v[177:178], s[0:1], -v[128:129]
	v_add_f64 v[4:5], v[4:5], v[122:123]
	v_mul_f64 v[122:123], v[177:178], s[6:7]
	v_add_f64 v[130:131], v[130:131], v[224:225]
	v_add_f64 v[128:129], v[128:129], v[12:13]
	s_waitcnt vmcnt(1)
	v_add_f64 v[166:167], v[36:37], v[166:167]
	s_clause 0x1
	buffer_load_dword v36, off, s[48:51], 0 offset:172
	buffer_load_dword v37, off, s[48:51], 0 offset:176
	v_add_f64 v[110:111], v[166:167], v[110:111]
	v_add_f64 v[166:167], v[4:5], v[14:15]
	s_waitcnt vmcnt(0)
	v_add_f64 v[132:133], v[132:133], -v[36:37]
	s_clause 0x1
	buffer_load_dword v36, off, s[48:51], 0 offset:300
	buffer_load_dword v37, off, s[48:51], 0 offset:304
	v_add_f64 v[16:17], v[132:133], v[16:17]
	v_mul_f64 v[132:133], v[177:178], s[24:25]
	s_waitcnt vmcnt(0)
	v_add_f64 v[138:139], v[36:37], v[138:139]
	s_clause 0x1
	buffer_load_dword v36, off, s[48:51], 0 offset:292
	buffer_load_dword v37, off, s[48:51], 0 offset:296
	v_add_f64 v[8:9], v[138:139], v[8:9]
	v_mul_f64 v[138:139], v[183:184], s[0:1]
	s_waitcnt vmcnt(0)
	v_add_f64 v[24:25], v[24:25], -v[36:37]
	s_clause 0x1
	buffer_load_dword v36, off, s[48:51], 0 offset:220
	buffer_load_dword v37, off, s[48:51], 0 offset:224
	v_add_f64 v[2:3], v[24:25], v[2:3]
	v_mul_f64 v[24:25], v[124:125], s[16:17]
	s_waitcnt vmcnt(0)
	v_add_f64 v[140:141], v[36:37], v[140:141]
	s_clause 0x1
	buffer_load_dword v36, off, s[48:51], 0 offset:196
	buffer_load_dword v37, off, s[48:51], 0 offset:200
	v_add_f64 v[110:111], v[140:141], v[110:111]
	v_mul_f64 v[140:141], v[146:147], s[30:31]
	v_mul_f64 v[146:147], v[183:184], s[26:27]
	v_fma_f64 v[14:15], v[124:125], s[6:7], -v[140:141]
	s_waitcnt vmcnt(0)
	v_add_f64 v[164:165], v[164:165], -v[36:37]
	s_clause 0x1
	buffer_load_dword v36, off, s[48:51], 0 offset:284
	buffer_load_dword v37, off, s[48:51], 0 offset:288
	v_add_f64 v[16:17], v[164:165], v[16:17]
	s_waitcnt vmcnt(0)
	v_add_f64 v[32:33], v[36:37], v[32:33]
	s_clause 0x1
	buffer_load_dword v36, off, s[48:51], 0 offset:276
	buffer_load_dword v37, off, s[48:51], 0 offset:280
	v_add_f64 v[8:9], v[32:33], v[8:9]
	s_waitcnt vmcnt(0)
	v_add_f64 v[122:123], v[122:123], -v[36:37]
	s_clause 0x1
	buffer_load_dword v36, off, s[48:51], 0 offset:228
	buffer_load_dword v37, off, s[48:51], 0 offset:232
	v_add_f64 v[122:123], v[122:123], v[2:3]
	v_add_f64 v[2:3], v[28:29], v[195:196]
	s_waitcnt vmcnt(0)
	v_add_f64 v[126:127], v[36:37], v[126:127]
	s_clause 0x1
	buffer_load_dword v36, off, s[48:51], 0 offset:212
	buffer_load_dword v37, off, s[48:51], 0 offset:216
	v_add_f64 v[110:111], v[126:127], v[110:111]
	v_add_f64 v[126:127], v[0:1], v[10:11]
	;; [unrolled: 1-line block ×3, first 2 shown]
	s_waitcnt vmcnt(0)
	v_add_f64 v[132:133], v[132:133], -v[36:37]
	s_clause 0x1
	buffer_load_dword v36, off, s[48:51], 0 offset:308
	buffer_load_dword v37, off, s[48:51], 0 offset:312
	v_add_f64 v[16:17], v[132:133], v[16:17]
	v_add_f64 v[132:133], v[22:23], v[18:19]
	s_waitcnt vmcnt(0)
	v_add_f64 v[164:165], v[24:25], -v[36:37]
	s_clause 0x3
	buffer_load_dword v36, off, s[48:51], 0 offset:268
	buffer_load_dword v37, off, s[48:51], 0 offset:272
	;; [unrolled: 1-line block ×4, first 2 shown]
	v_mul_f64 v[24:25], v[124:125], s[26:27]
	v_add_f64 v[12:13], v[164:165], v[132:133]
	s_waitcnt vmcnt(2)
	v_add_f64 v[118:119], v[36:37], v[118:119]
	s_waitcnt vmcnt(0)
	v_add_f64 v[168:169], v[6:7], -v[4:5]
	s_clause 0x3
	buffer_load_dword v4, off, s[48:51], 0 offset:252
	buffer_load_dword v5, off, s[48:51], 0 offset:256
	buffer_load_dword v6, off, s[48:51], 0 offset:244
	buffer_load_dword v7, off, s[48:51], 0 offset:248
	v_add_f64 v[18:19], v[118:119], v[166:167]
	s_waitcnt vmcnt(2)
	v_add_f64 v[138:139], v[4:5], v[138:139]
	s_waitcnt vmcnt(0)
	v_add_f64 v[32:33], v[120:121], -v[6:7]
	s_clause 0x1
	buffer_load_dword v6, off, s[48:51], 0 offset:188
	buffer_load_dword v7, off, s[48:51], 0 offset:192
	v_fma_f64 v[4:5], v[124:125], s[6:7], v[140:141]
	v_fma_f64 v[120:121], v[124:125], s[4:5], -v[144:145]
	v_fma_f64 v[124:125], v[124:125], s[4:5], v[144:145]
	v_add_f64 v[22:23], v[138:139], v[8:9]
	v_add_f64 v[0:1], v[4:5], v[211:212]
	;; [unrolled: 1-line block ×4, first 2 shown]
	s_waitcnt vmcnt(0)
	v_add_f64 v[140:141], v[6:7], v[146:147]
	s_clause 0x1
	buffer_load_dword v6, off, s[48:51], 0 offset:164
	buffer_load_dword v7, off, s[48:51], 0 offset:168
	v_add_f64 v[26:27], v[140:141], v[110:111]
	s_waitcnt vmcnt(0)
	v_add_f64 v[24:25], v[24:25], -v[6:7]
	s_clause 0x1
	buffer_load_dword v6, off, s[48:51], 0 offset:156
	buffer_load_dword v7, off, s[48:51], 0 offset:160
	v_add_f64 v[24:25], v[24:25], v[16:17]
	v_add_f64 v[16:17], v[168:169], v[126:127]
	s_waitcnt vmcnt(0)
	v_add_f64 v[20:21], v[20:21], v[6:7]
	s_clause 0x7
	buffer_load_dword v6, off, s[48:51], 0 offset:148
	buffer_load_dword v7, off, s[48:51], 0 offset:152
	;; [unrolled: 1-line block ×8, first 2 shown]
	v_add_f64 v[30:31], v[20:21], v[38:39]
	v_add_f64 v[20:21], v[32:33], v[122:123]
	;; [unrolled: 1-line block ×3, first 2 shown]
	s_waitcnt vmcnt(6)
	v_add_f64 v[108:109], v[108:109], v[6:7]
	v_add_f64 v[6:7], v[34:35], v[134:135]
	v_add_f64 v[34:35], v[114:115], v[116:117]
	s_waitcnt vmcnt(0)
	v_add_f64 v[28:29], v[108:109], v[8:9]
	v_add_f64 v[8:9], v[120:121], v[128:129]
	v_mov_b32_e32 v108, 0x75
	v_mul_u32_u24_sdwa v108, v236, v108 dst_sel:DWORD dst_unused:UNUSED_PAD src0_sel:WORD_0 src1_sel:DWORD
	v_add_lshl_u32 v108, v108, v247, 4
	ds_write_b128 v108, v[28:31]
	ds_write_b128 v108, v[24:27] offset:144
	ds_write_b128 v108, v[20:23] offset:288
	;; [unrolled: 1-line block ×12, first 2 shown]
.LBB0_5:
	s_or_b32 exec_lo, exec_lo, s33
	v_mov_b32_e32 v0, 0x8c09
	v_lshlrev_b32_e32 v171, 5, v228
	s_waitcnt lgkmcnt(0)
	s_waitcnt_vscnt null, 0x0
	s_barrier
	buffer_gl0_inv
	v_mul_u32_u24_sdwa v0, v223, v0 dst_sel:DWORD dst_unused:UNUSED_PAD src0_sel:WORD_0 src1_sel:DWORD
	s_clause 0x1
	global_load_dwordx4 v[112:115], v171, s[14:15] offset:1824
	global_load_dwordx4 v[108:111], v171, s[14:15] offset:1840
	s_mov_b32 s6, 0xe8584caa
	s_mov_b32 s7, 0x3febb67a
	;; [unrolled: 1-line block ×3, first 2 shown]
	v_lshrrev_b32_e32 v0, 22, v0
	s_mov_b32 s4, s6
	v_lshlrev_b32_e32 v173, 5, v176
	v_lshlrev_b32_e32 v174, 5, v223
	v_mov_b32_e32 v172, 4
	v_mul_lo_u16 v0, 0x75, v0
	v_sub_nc_u16 v170, v223, v0
	v_lshlrev_b16 v0, 5, v170
	v_and_b32_e32 v0, 0xffff, v0
	v_add_co_u32 v0, s0, s14, v0
	v_add_co_ci_u32_e64 v1, null, s15, 0, s0
	v_add_co_u32 v171, s0, s14, v171
	v_add_co_ci_u32_e64 v175, null, s15, 0, s0
	s_clause 0x1
	global_load_dwordx4 v[120:123], v[0:1], off offset:1824
	global_load_dwordx4 v[116:119], v[0:1], off offset:1840
	ds_read_b128 v[0:3], v255 offset:5616
	ds_read_b128 v[4:7], v255 offset:11232
	;; [unrolled: 1-line block ×7, first 2 shown]
	v_add_co_u32 v173, s0, s14, v173
	v_add_co_ci_u32_e64 v176, null, s15, 0, s0
	s_waitcnt vmcnt(3) lgkmcnt(6)
	v_mul_f64 v[28:29], v[2:3], v[114:115]
	v_mul_f64 v[30:31], v[0:1], v[114:115]
	s_waitcnt vmcnt(2) lgkmcnt(5)
	v_mul_f64 v[32:33], v[6:7], v[110:111]
	v_mul_f64 v[34:35], v[4:5], v[110:111]
	s_waitcnt lgkmcnt(4)
	v_mul_f64 v[124:125], v[10:11], v[114:115]
	v_mul_f64 v[126:127], v[8:9], v[114:115]
	s_waitcnt lgkmcnt(3)
	v_mul_f64 v[128:129], v[14:15], v[110:111]
	v_mul_f64 v[130:131], v[12:13], v[110:111]
	v_fma_f64 v[28:29], v[0:1], v[112:113], -v[28:29]
	v_fma_f64 v[30:31], v[2:3], v[112:113], v[30:31]
	v_fma_f64 v[32:33], v[4:5], v[108:109], -v[32:33]
	v_fma_f64 v[34:35], v[6:7], v[108:109], v[34:35]
	;; [unrolled: 2-line block ×4, first 2 shown]
	ds_read_b128 v[0:3], v255
	ds_read_b128 v[4:7], v255 offset:1872
	s_waitcnt vmcnt(0) lgkmcnt(0)
	s_barrier
	buffer_gl0_inv
	v_mul_f64 v[132:133], v[18:19], v[122:123]
	v_mul_f64 v[134:135], v[16:17], v[122:123]
	;; [unrolled: 1-line block ×4, first 2 shown]
	v_add_f64 v[140:141], v[4:5], v[8:9]
	v_add_f64 v[128:129], v[8:9], v[12:13]
	;; [unrolled: 1-line block ×4, first 2 shown]
	v_add_f64 v[144:145], v[10:11], -v[14:15]
	v_add_f64 v[146:147], v[8:9], -v[12:13]
	v_fma_f64 v[16:17], v[16:17], v[120:121], -v[132:133]
	v_fma_f64 v[18:19], v[18:19], v[120:121], v[134:135]
	v_fma_f64 v[124:125], v[20:21], v[116:117], -v[136:137]
	v_fma_f64 v[126:127], v[22:23], v[116:117], v[138:139]
	v_add_f64 v[20:21], v[28:29], v[32:33]
	v_add_f64 v[22:23], v[30:31], v[34:35]
	;; [unrolled: 1-line block ×3, first 2 shown]
	v_add_f64 v[138:139], v[30:31], -v[34:35]
	v_add_f64 v[30:31], v[2:3], v[30:31]
	v_add_f64 v[28:29], v[28:29], -v[32:33]
	v_add_f64 v[166:167], v[26:27], v[18:19]
	v_add_f64 v[132:133], v[16:17], v[124:125]
	;; [unrolled: 1-line block ×3, first 2 shown]
	v_fma_f64 v[10:11], v[20:21], -0.5, v[0:1]
	v_fma_f64 v[20:21], v[22:23], -0.5, v[2:3]
	;; [unrolled: 1-line block ×4, first 2 shown]
	v_add_f64 v[130:131], v[24:25], v[16:17]
	v_add_f64 v[164:165], v[18:19], -v[126:127]
	v_add_f64 v[168:169], v[16:17], -v[124:125]
	v_add_f64 v[0:1], v[136:137], v[32:33]
	v_add_f64 v[2:3], v[30:31], v[34:35]
	;; [unrolled: 1-line block ×4, first 2 shown]
	v_add_co_u32 v35, s0, s14, v174
	v_fma_f64 v[132:133], v[132:133], -0.5, v[24:25]
	v_fma_f64 v[134:135], v[134:135], -0.5, v[26:27]
	v_fma_f64 v[8:9], v[138:139], s[6:7], v[10:11]
	v_fma_f64 v[12:13], v[138:139], s[4:5], v[10:11]
	;; [unrolled: 1-line block ×8, first 2 shown]
	v_add_f64 v[25:26], v[130:131], v[124:125]
	v_add_f64 v[27:28], v[166:167], v[126:127]
	v_lshlrev_b32_sdwa v20, v172, v170 dst_sel:DWORD dst_unused:UNUSED_PAD src0_sel:DWORD src1_sel:WORD_0
	v_fma_f64 v[29:30], v[164:165], s[6:7], v[132:133]
	v_fma_f64 v[31:32], v[168:169], s[4:5], v[134:135]
	;; [unrolled: 1-line block ×4, first 2 shown]
	v_add_co_ci_u32_e64 v132, null, s15, 0, s0
	v_add_co_u32 v33, s0, 0x15c0, v171
	v_add_co_ci_u32_e64 v34, s0, 0, v175, s0
	v_add_co_u32 v128, s0, 0x1000, v171
	v_add_co_ci_u32_e64 v129, s0, 0, v175, s0
	ds_write_b128 v255, v[0:3]
	ds_write_b128 v255, v[4:7] offset:5616
	ds_write_b128 v255, v[8:11] offset:1872
	;; [unrolled: 1-line block ×8, first 2 shown]
	s_waitcnt lgkmcnt(0)
	s_barrier
	buffer_gl0_inv
	global_load_dwordx4 v[124:127], v[128:129], off offset:1472
	v_add_co_u32 v0, s0, 0x1000, v173
	v_add_co_ci_u32_e64 v1, s0, 0, v176, s0
	v_add_co_u32 v2, s0, 0x15c0, v173
	v_add_co_ci_u32_e64 v3, s0, 0, v176, s0
	;; [unrolled: 2-line block ×3, first 2 shown]
	v_add_co_u32 v6, s0, 0x15c0, v35
	global_load_dwordx4 v[128:131], v[33:34], off offset:16
	v_add_co_ci_u32_e64 v7, s0, 0, v132, s0
	s_clause 0x3
	global_load_dwordx4 v[132:135], v[0:1], off offset:1472
	global_load_dwordx4 v[136:139], v[2:3], off offset:16
	;; [unrolled: 1-line block ×4, first 2 shown]
	ds_read_b128 v[0:3], v255 offset:5616
	ds_read_b128 v[4:7], v255 offset:11232
	;; [unrolled: 1-line block ×7, first 2 shown]
	s_waitcnt vmcnt(5) lgkmcnt(6)
	v_mul_f64 v[29:30], v[2:3], v[126:127]
	v_mul_f64 v[31:32], v[0:1], v[126:127]
	s_waitcnt vmcnt(4) lgkmcnt(5)
	v_mul_f64 v[33:34], v[6:7], v[130:131]
	s_waitcnt vmcnt(3) lgkmcnt(4)
	;; [unrolled: 2-line block ×5, first 2 shown]
	v_mul_f64 v[176:177], v[23:24], v[146:147]
	v_mul_f64 v[164:165], v[4:5], v[130:131]
	;; [unrolled: 1-line block ×3, first 2 shown]
	v_fma_f64 v[29:30], v[0:1], v[124:125], -v[29:30]
	v_mul_f64 v[0:1], v[21:22], v[146:147]
	v_mul_f64 v[166:167], v[10:11], v[134:135]
	v_mul_f64 v[170:171], v[14:15], v[138:139]
	v_fma_f64 v[31:32], v[2:3], v[124:125], v[31:32]
	v_fma_f64 v[33:34], v[4:5], v[128:129], -v[33:34]
	v_fma_f64 v[10:11], v[10:11], v[132:133], v[168:169]
	v_fma_f64 v[14:15], v[14:15], v[136:137], v[172:173]
	v_fma_f64 v[16:17], v[16:17], v[140:141], -v[174:175]
	v_fma_f64 v[21:22], v[21:22], v[144:145], -v[176:177]
	v_fma_f64 v[164:165], v[6:7], v[128:129], v[164:165]
	v_fma_f64 v[18:19], v[18:19], v[140:141], v[178:179]
	;; [unrolled: 1-line block ×3, first 2 shown]
	v_fma_f64 v[8:9], v[8:9], v[132:133], -v[166:167]
	v_fma_f64 v[12:13], v[12:13], v[136:137], -v[170:171]
	ds_read_b128 v[0:3], v255
	ds_read_b128 v[4:7], v255 offset:1872
	v_add_f64 v[166:167], v[29:30], v[33:34]
	v_add_f64 v[172:173], v[10:11], v[14:15]
	s_waitcnt lgkmcnt(2)
	v_add_f64 v[182:183], v[25:26], v[16:17]
	v_add_f64 v[174:175], v[16:17], v[21:22]
	;; [unrolled: 1-line block ×3, first 2 shown]
	v_add_f64 v[188:189], v[16:17], -v[21:22]
	v_add_f64 v[176:177], v[18:19], v[23:24]
	s_waitcnt lgkmcnt(1)
	v_add_f64 v[178:179], v[0:1], v[29:30]
	v_add_f64 v[170:171], v[8:9], v[12:13]
	s_waitcnt lgkmcnt(0)
	v_add_f64 v[180:181], v[4:5], v[8:9]
	v_add_f64 v[29:30], v[29:30], -v[33:34]
	v_add_f64 v[184:185], v[8:9], -v[12:13]
	;; [unrolled: 1-line block ×3, first 2 shown]
	v_fma_f64 v[166:167], v[166:167], -0.5, v[0:1]
	v_add_f64 v[0:1], v[2:3], v[31:32]
	v_fma_f64 v[172:173], v[172:173], -0.5, v[6:7]
	v_add_f64 v[6:7], v[6:7], v[10:11]
	;; [unrolled: 2-line block ×4, first 2 shown]
	v_fma_f64 v[176:177], v[176:177], -0.5, v[27:28]
	v_add_f64 v[27:28], v[31:32], -v[164:165]
	v_fma_f64 v[170:171], v[170:171], -0.5, v[4:5]
	v_add_f64 v[31:32], v[10:11], -v[14:15]
	v_add_f64 v[4:5], v[180:181], v[12:13]
	v_add_f64 v[2:3], v[0:1], v[164:165]
	v_add_f64 v[0:1], v[178:179], v[33:34]
	v_add_f64 v[6:7], v[6:7], v[14:15]
	v_lshlrev_b32_e32 v33, 4, v228
	v_add_f64 v[10:11], v[25:26], v[23:24]
	v_fma_f64 v[14:15], v[29:30], s[4:5], v[168:169]
	v_fma_f64 v[18:19], v[29:30], s[6:7], v[168:169]
	;; [unrolled: 1-line block ×12, first 2 shown]
	v_add_co_u32 v35, s0, s12, v33
	v_add_co_ci_u32_e64 v176, null, s13, 0, s0
	ds_write_b128 v255, v[0:3]
	ds_write_b128 v255, v[4:7] offset:1872
	ds_write_b128 v255, v[8:11] offset:3744
	;; [unrolled: 1-line block ×8, first 2 shown]
	v_add_co_u32 v33, s0, 0x4000, v35
	v_add_co_ci_u32_e64 v34, s0, 0, v176, s0
	s_waitcnt lgkmcnt(0)
	s_barrier
	buffer_gl0_inv
	global_load_dwordx4 v[0:3], v[33:34], off offset:464
	v_add_co_u32 v33, s0, 0x5000, v35
	v_add_co_ci_u32_e64 v34, s0, 0, v176, s0
	v_add_co_u32 v8, s0, 0x6800, v35
	v_add_co_ci_u32_e64 v9, s0, 0, v176, s0
	;; [unrolled: 2-line block ×3, first 2 shown]
	s_clause 0x1
	global_load_dwordx4 v[4:7], v[33:34], off offset:1984
	global_load_dwordx4 v[8:11], v[8:9], off offset:1456
	v_add_co_u32 v16, s0, 0x5800, v35
	global_load_dwordx4 v[12:15], v[12:13], off offset:1872
	v_add_co_ci_u32_e64 v17, s0, 0, v176, s0
	global_load_dwordx4 v[16:19], v[16:17], off offset:1808
	ds_read_b128 v[21:24], v255
	ds_read_b128 v[25:28], v255 offset:5616
	ds_read_b128 v[29:32], v255 offset:1872
	global_load_dwordx4 v[164:167], v[33:34], off offset:112
	ds_read_b128 v[168:171], v255 offset:3744
	s_waitcnt vmcnt(5) lgkmcnt(3)
	v_mul_f64 v[172:173], v[23:24], v[2:3]
	v_mul_f64 v[2:3], v[21:22], v[2:3]
	s_waitcnt vmcnt(4) lgkmcnt(2)
	v_mul_f64 v[33:34], v[27:28], v[6:7]
	v_mul_f64 v[6:7], v[25:26], v[6:7]
	v_fma_f64 v[21:22], v[21:22], v[0:1], -v[172:173]
	s_waitcnt vmcnt(2) lgkmcnt(1)
	v_mul_f64 v[172:173], v[31:32], v[14:15]
	v_mul_f64 v[14:15], v[29:30], v[14:15]
	v_fma_f64 v[23:24], v[23:24], v[0:1], v[2:3]
	ds_read_b128 v[0:3], v255 offset:11232
	v_fma_f64 v[25:26], v[25:26], v[4:5], -v[33:34]
	v_fma_f64 v[27:28], v[27:28], v[4:5], v[6:7]
	ds_read_b128 v[4:7], v255 offset:13104
	v_fma_f64 v[29:30], v[29:30], v[12:13], -v[172:173]
	v_fma_f64 v[31:32], v[31:32], v[12:13], v[14:15]
	ds_read_b128 v[12:15], v255 offset:9360
	s_waitcnt lgkmcnt(2)
	v_mul_f64 v[33:34], v[2:3], v[10:11]
	v_mul_f64 v[10:11], v[0:1], v[10:11]
	v_add_co_u32 v172, s0, 0x7000, v35
	v_add_co_ci_u32_e64 v173, s0, 0, v176, s0
	v_fma_f64 v[0:1], v[0:1], v[8:9], -v[33:34]
	v_fma_f64 v[2:3], v[2:3], v[8:9], v[10:11]
	ds_read_b128 v[8:11], v255 offset:7488
	s_waitcnt vmcnt(1) lgkmcnt(0)
	v_mul_f64 v[33:34], v[10:11], v[18:19]
	v_mul_f64 v[18:19], v[8:9], v[18:19]
	v_fma_f64 v[8:9], v[8:9], v[16:17], -v[33:34]
	v_fma_f64 v[10:11], v[10:11], v[16:17], v[18:19]
	global_load_dwordx4 v[16:19], v[172:173], off offset:1280
	v_add_co_u32 v33, s0, 0x6000, v35
	v_add_co_ci_u32_e64 v34, s0, 0, v176, s0
	global_load_dwordx4 v[172:175], v[33:34], off offset:1632
	s_waitcnt vmcnt(1)
	v_mul_f64 v[33:34], v[6:7], v[18:19]
	v_mul_f64 v[18:19], v[4:5], v[18:19]
	v_fma_f64 v[4:5], v[4:5], v[16:17], -v[33:34]
	v_fma_f64 v[6:7], v[6:7], v[16:17], v[18:19]
	v_add_co_u32 v16, s0, 0x7800, v35
	v_add_co_ci_u32_e64 v17, s0, 0, v176, s0
	v_mul_f64 v[33:34], v[170:171], v[166:167]
	v_mul_f64 v[176:177], v[168:169], v[166:167]
	global_load_dwordx4 v[16:19], v[16:17], off offset:1104
	v_fma_f64 v[166:167], v[168:169], v[164:165], -v[33:34]
	s_waitcnt vmcnt(1)
	v_mul_f64 v[33:34], v[14:15], v[174:175]
	v_fma_f64 v[168:169], v[170:171], v[164:165], v[176:177]
	v_mul_f64 v[164:165], v[12:13], v[174:175]
	ds_read_b128 v[174:177], v255 offset:14976
	v_fma_f64 v[12:13], v[12:13], v[172:173], -v[33:34]
	v_fma_f64 v[14:15], v[14:15], v[172:173], v[164:165]
	s_waitcnt vmcnt(0) lgkmcnt(0)
	v_mul_f64 v[33:34], v[176:177], v[18:19]
	v_mul_f64 v[18:19], v[174:175], v[18:19]
	v_fma_f64 v[170:171], v[174:175], v[16:17], -v[33:34]
	v_fma_f64 v[172:173], v[176:177], v[16:17], v[18:19]
	ds_write_b128 v255, v[21:24]
	ds_write_b128 v255, v[25:28] offset:5616
	ds_write_b128 v255, v[0:3] offset:11232
	;; [unrolled: 1-line block ×8, first 2 shown]
	s_waitcnt lgkmcnt(0)
	s_barrier
	buffer_gl0_inv
	ds_read_b128 v[0:3], v255 offset:5616
	ds_read_b128 v[4:7], v255 offset:11232
	;; [unrolled: 1-line block ×7, first 2 shown]
	ds_read_b128 v[29:32], v255
	ds_read_b128 v[164:167], v255 offset:1872
	s_waitcnt lgkmcnt(0)
	s_barrier
	buffer_gl0_inv
	v_add_f64 v[33:34], v[0:1], v[4:5]
	v_add_f64 v[168:169], v[2:3], v[6:7]
	v_add_f64 v[170:171], v[12:13], v[8:9]
	v_add_f64 v[172:173], v[14:15], v[10:11]
	v_add_f64 v[174:175], v[16:17], v[21:22]
	v_add_f64 v[176:177], v[18:19], v[23:24]
	v_add_f64 v[178:179], v[29:30], v[0:1]
	v_add_f64 v[180:181], v[0:1], -v[4:5]
	v_add_f64 v[182:183], v[14:15], -v[10:11]
	;; [unrolled: 1-line block ×5, first 2 shown]
	v_fma_f64 v[29:30], v[33:34], -0.5, v[29:30]
	v_fma_f64 v[33:34], v[168:169], -0.5, v[31:32]
	v_add_f64 v[31:32], v[31:32], v[2:3]
	v_add_f64 v[168:169], v[164:165], v[12:13]
	v_fma_f64 v[164:165], v[170:171], -0.5, v[164:165]
	v_fma_f64 v[170:171], v[172:173], -0.5, v[166:167]
	v_add_f64 v[172:173], v[25:26], v[16:17]
	v_fma_f64 v[174:175], v[174:175], -0.5, v[25:26]
	v_fma_f64 v[176:177], v[176:177], -0.5, v[27:28]
	v_add_f64 v[25:26], v[27:28], v[18:19]
	v_add_f64 v[27:28], v[2:3], -v[6:7]
	v_add_f64 v[0:1], v[178:179], v[4:5]
	v_add_f64 v[166:167], v[166:167], v[14:15]
	v_fma_f64 v[14:15], v[180:181], s[6:7], v[33:34]
	v_add_f64 v[2:3], v[31:32], v[6:7]
	v_fma_f64 v[18:19], v[180:181], s[4:5], v[33:34]
	v_add_f64 v[4:5], v[168:169], v[8:9]
	v_add_f64 v[8:9], v[172:173], v[21:22]
	v_fma_f64 v[21:22], v[182:183], s[4:5], v[164:165]
	v_fma_f64 v[31:32], v[188:189], s[6:7], v[176:177]
	;; [unrolled: 1-line block ×4, first 2 shown]
	ds_write_b128 v254, v[0:3]
	ds_write_b128 v254, v[12:15] offset:16
	ds_write_b128 v254, v[16:19] offset:32
	buffer_load_dword v0, off, s[48:51], 0 offset:128 ; 4-byte Folded Reload
	v_add_f64 v[6:7], v[166:167], v[10:11]
	v_add_f64 v[10:11], v[25:26], v[23:24]
	v_fma_f64 v[23:24], v[184:185], s[6:7], v[170:171]
	v_fma_f64 v[25:26], v[182:183], s[6:7], v[164:165]
	;; [unrolled: 1-line block ×6, first 2 shown]
	s_waitcnt vmcnt(0)
	ds_write_b128 v0, v[4:7]
	ds_write_b128 v0, v[21:24] offset:16
	ds_write_b128 v0, v[25:28] offset:32
	ds_write_b128 v252, v[8:11]
	ds_write_b128 v252, v[29:32] offset:16
	ds_write_b128 v252, v[164:167] offset:32
	s_waitcnt lgkmcnt(0)
	s_barrier
	buffer_gl0_inv
	ds_read_b128 v[0:3], v255 offset:5616
	ds_read_b128 v[4:7], v255 offset:11232
	;; [unrolled: 1-line block ×7, first 2 shown]
	s_waitcnt lgkmcnt(6)
	v_mul_f64 v[29:30], v[58:59], v[2:3]
	s_waitcnt lgkmcnt(5)
	v_mul_f64 v[31:32], v[54:55], v[6:7]
	v_mul_f64 v[33:34], v[58:59], v[0:1]
	v_mul_f64 v[54:55], v[54:55], v[4:5]
	s_waitcnt lgkmcnt(4)
	v_mul_f64 v[58:59], v[50:51], v[10:11]
	s_waitcnt lgkmcnt(3)
	v_mul_f64 v[164:165], v[46:47], v[14:15]
	v_mul_f64 v[50:51], v[50:51], v[8:9]
	v_mul_f64 v[46:47], v[46:47], v[12:13]
	;; [unrolled: 6-line block ×3, first 2 shown]
	v_fma_f64 v[29:30], v[56:57], v[0:1], v[29:30]
	v_fma_f64 v[31:32], v[52:53], v[4:5], v[31:32]
	v_fma_f64 v[33:34], v[56:57], v[2:3], -v[33:34]
	v_fma_f64 v[52:53], v[52:53], v[6:7], -v[54:55]
	v_fma_f64 v[8:9], v[48:49], v[8:9], v[58:59]
	v_fma_f64 v[12:13], v[44:45], v[12:13], v[164:165]
	v_fma_f64 v[10:11], v[48:49], v[10:11], -v[50:51]
	v_fma_f64 v[14:15], v[44:45], v[14:15], -v[46:47]
	;; [unrolled: 4-line block ×3, first 2 shown]
	ds_read_b128 v[0:3], v255
	ds_read_b128 v[4:7], v255 offset:1872
	s_waitcnt lgkmcnt(0)
	s_barrier
	buffer_gl0_inv
	v_add_f64 v[44:45], v[29:30], v[31:32]
	v_add_f64 v[46:47], v[33:34], v[52:53]
	v_add_f64 v[60:61], v[33:34], -v[52:53]
	v_add_f64 v[48:49], v[8:9], v[12:13]
	v_add_f64 v[50:51], v[10:11], v[14:15]
	;; [unrolled: 1-line block ×10, first 2 shown]
	v_add_f64 v[29:30], v[29:30], -v[31:32]
	v_add_f64 v[10:11], v[10:11], -v[14:15]
	;; [unrolled: 1-line block ×5, first 2 shown]
	v_fma_f64 v[0:1], v[44:45], -0.5, v[0:1]
	v_fma_f64 v[2:3], v[46:47], -0.5, v[2:3]
	;; [unrolled: 1-line block ×5, first 2 shown]
	v_add_f64 v[44:45], v[58:59], v[31:32]
	v_fma_f64 v[27:28], v[56:57], -0.5, v[27:28]
	v_add_f64 v[46:47], v[33:34], v[52:53]
	v_add_f64 v[168:169], v[62:63], v[12:13]
	;; [unrolled: 1-line block ×5, first 2 shown]
	v_fma_f64 v[48:49], v[60:61], s[4:5], v[0:1]
	v_fma_f64 v[172:173], v[60:61], s[6:7], v[0:1]
	;; [unrolled: 1-line block ×12, first 2 shown]
	ds_write_b128 v253, v[44:47]
	ds_write_b128 v253, v[48:51] offset:48
	ds_write_b128 v253, v[172:175] offset:96
	ds_write_b128 v248, v[168:171]
	ds_write_b128 v248, v[56:59] offset:48
	ds_write_b128 v248, v[64:67] offset:96
	;; [unrolled: 3-line block ×3, first 2 shown]
	s_waitcnt lgkmcnt(0)
	s_barrier
	buffer_gl0_inv
	s_and_saveexec_b32 s0, vcc_lo
	s_cbranch_execz .LBB0_7
; %bb.6:
	ds_read_b128 v[44:47], v255
	ds_read_b128 v[48:51], v255 offset:1296
	ds_read_b128 v[172:175], v255 offset:2592
	;; [unrolled: 1-line block ×12, first 2 shown]
.LBB0_7:
	s_or_b32 exec_lo, exec_lo, s0
	s_waitcnt lgkmcnt(0)
	s_barrier
	buffer_gl0_inv
	s_and_saveexec_b32 s33, vcc_lo
	s_cbranch_execz .LBB0_9
; %bb.8:
	s_clause 0x3
	buffer_load_dword v35, off, s[48:51], 0 offset:132
	buffer_load_dword v36, off, s[48:51], 0 offset:136
	buffer_load_dword v37, off, s[48:51], 0 offset:140
	buffer_load_dword v38, off, s[48:51], 0 offset:144
	v_mul_f64 v[0:1], v[102:103], v[174:175]
	v_mul_f64 v[2:3], v[102:103], v[172:173]
	;; [unrolled: 1-line block ×15, first 2 shown]
	s_mov_b32 s21, 0x3fddbe06
	s_mov_b32 s20, 0x4267c47c
	;; [unrolled: 1-line block ×7, first 2 shown]
	v_fma_f64 v[98:99], v[100:101], v[172:173], v[0:1]
	v_fma_f64 v[100:101], v[100:101], v[174:175], -v[2:3]
	v_mul_f64 v[2:3], v[86:87], v[164:165]
	v_fma_f64 v[82:83], v[104:105], v[162:163], -v[6:7]
	v_mul_f64 v[6:7], v[90:91], v[152:153]
	v_fma_f64 v[86:87], v[96:97], v[168:169], v[8:9]
	v_mul_f64 v[8:9], v[94:95], v[158:159]
	s_mov_b32 s5, 0x3fefc445
	s_mov_b32 s7, 0x3fea55e2
	;; [unrolled: 1-line block ×5, first 2 shown]
	v_fma_f64 v[94:95], v[68:69], v[54:55], -v[31:32]
	s_mov_b32 s16, s6
	s_mov_b32 s15, 0xbfedeba7
	;; [unrolled: 1-line block ×11, first 2 shown]
	v_fma_f64 v[70:71], v[84:85], v[166:167], -v[2:3]
	s_mov_b32 s31, 0x3fe22d96
	s_mov_b32 s29, 0xbfe7f3cc
	;; [unrolled: 1-line block ×9, first 2 shown]
	s_waitcnt vmcnt(0)
	v_mul_f64 v[16:17], v[37:38], v[50:51]
	v_mul_f64 v[23:24], v[37:38], v[48:49]
	v_fma_f64 v[38:39], v[104:105], v[160:161], v[4:5]
	v_mul_f64 v[4:5], v[90:91], v[154:155]
	v_fma_f64 v[90:91], v[96:97], v[170:171], -v[10:11]
	v_mul_f64 v[10:11], v[78:79], v[56:57]
	v_fma_f64 v[78:79], v[80:81], v[64:65], v[12:13]
	v_mul_f64 v[12:13], v[74:75], v[62:63]
	v_fma_f64 v[80:81], v[80:81], v[66:67], -v[14:15]
	v_mul_f64 v[14:15], v[42:43], v[148:149]
	v_fma_f64 v[66:67], v[84:85], v[164:165], v[18:19]
	v_fma_f64 v[64:65], v[88:89], v[154:155], -v[6:7]
	v_fma_f64 v[96:97], v[76:77], v[56:57], v[27:28]
	v_fma_f64 v[56:57], v[92:93], v[156:157], v[8:9]
	;; [unrolled: 1-line block ×3, first 2 shown]
	v_add_f64 v[84:85], v[100:101], -v[82:83]
	v_fma_f64 v[0:1], v[35:36], v[48:49], v[16:17]
	v_fma_f64 v[6:7], v[35:36], v[50:51], -v[23:24]
	v_fma_f64 v[48:49], v[88:89], v[152:153], v[4:5]
	v_fma_f64 v[88:89], v[72:73], v[62:63], -v[33:34]
	v_fma_f64 v[102:103], v[76:77], v[58:59], -v[10:11]
	;; [unrolled: 1-line block ×3, first 2 shown]
	v_fma_f64 v[76:77], v[68:69], v[52:53], v[25:26]
	v_fma_f64 v[74:75], v[72:73], v[60:61], v[12:13]
	v_fma_f64 v[36:37], v[40:41], v[150:151], -v[14:15]
	v_add_f64 v[92:93], v[98:99], -v[38:39]
	v_add_f64 v[54:55], v[78:79], -v[66:67]
	;; [unrolled: 1-line block ×5, first 2 shown]
	v_mul_f64 v[2:3], v[84:85], s[20:21]
	v_add_f64 v[196:197], v[96:97], v[56:57]
	v_add_f64 v[200:201], v[80:81], v[70:71]
	;; [unrolled: 1-line block ×3, first 2 shown]
	v_add_f64 v[16:17], v[0:1], -v[42:43]
	v_add_f64 v[170:171], v[0:1], v[42:43]
	v_add_f64 v[184:185], v[44:45], v[0:1]
	v_add_f64 v[72:73], v[86:87], -v[48:49]
	v_add_f64 v[52:53], v[94:95], -v[88:89]
	v_add_f64 v[188:189], v[86:87], v[48:49]
	v_add_f64 v[60:61], v[102:103], -v[58:59]
	v_add_f64 v[192:193], v[102:103], v[58:59]
	;; [unrolled: 2-line block ×3, first 2 shown]
	v_mul_f64 v[4:5], v[92:93], s[20:21]
	v_mul_f64 v[104:105], v[54:55], s[20:21]
	;; [unrolled: 1-line block ×5, first 2 shown]
	v_add_f64 v[148:149], v[6:7], -v[36:37]
	v_add_f64 v[6:7], v[46:47], v[6:7]
	v_mul_f64 v[190:191], v[68:69], s[0:1]
	v_mul_f64 v[194:195], v[62:63], s[6:7]
	;; [unrolled: 1-line block ×4, first 2 shown]
	v_add_f64 v[208:209], v[94:95], v[88:89]
	v_mul_f64 v[14:15], v[16:17], s[12:13]
	v_mul_f64 v[12:13], v[16:17], s[0:1]
	;; [unrolled: 1-line block ×9, first 2 shown]
	s_mov_b32 s21, 0xbfddbe06
	v_mul_f64 v[186:187], v[72:73], s[0:1]
	v_mul_f64 v[16:17], v[16:17], s[20:21]
	;; [unrolled: 1-line block ×4, first 2 shown]
	v_add_f64 v[212:213], v[76:77], v[74:75]
	v_mul_f64 v[162:163], v[148:149], s[0:1]
	v_mul_f64 v[164:165], v[148:149], s[14:15]
	;; [unrolled: 1-line block ×4, first 2 shown]
	s_mov_b32 s21, 0x3fe5384d
	s_mov_b32 s20, s0
	v_add_f64 v[6:7], v[6:7], v[100:101]
	v_fma_f64 v[150:151], v[10:11], s[24:25], v[14:15]
	v_fma_f64 v[14:15], v[10:11], s[24:25], -v[14:15]
	v_fma_f64 v[152:153], v[10:11], s[28:29], v[12:13]
	v_fma_f64 v[12:13], v[10:11], s[28:29], -v[12:13]
	;; [unrolled: 2-line block ×4, first 2 shown]
	v_fma_f64 v[158:159], v[10:11], s[30:31], -v[33:34]
	v_fma_f64 v[33:34], v[10:11], s[30:31], v[33:34]
	v_fma_f64 v[160:161], v[10:11], s[26:27], -v[16:17]
	v_fma_f64 v[10:11], v[10:11], s[26:27], v[16:17]
	v_mul_f64 v[16:17], v[148:149], s[12:13]
	v_mul_f64 v[148:149], v[148:149], s[16:17]
	v_fma_f64 v[174:175], v[170:171], s[28:29], -v[162:163]
	v_fma_f64 v[162:163], v[170:171], s[28:29], v[162:163]
	v_fma_f64 v[176:177], v[170:171], s[34:35], -v[164:165]
	v_fma_f64 v[164:165], v[170:171], s[34:35], v[164:165]
	;; [unrolled: 2-line block ×3, first 2 shown]
	v_fma_f64 v[182:183], v[170:171], s[26:27], v[168:169]
	v_fma_f64 v[168:169], v[170:171], s[26:27], -v[168:169]
	v_add_f64 v[150:151], v[46:47], v[150:151]
	v_add_f64 v[14:15], v[46:47], v[14:15]
	;; [unrolled: 1-line block ×11, first 2 shown]
	v_fma_f64 v[172:173], v[170:171], s[24:25], -v[16:17]
	v_fma_f64 v[16:17], v[170:171], s[24:25], v[16:17]
	v_fma_f64 v[180:181], v[170:171], s[30:31], v[148:149]
	v_fma_f64 v[148:149], v[170:171], s[30:31], -v[148:149]
	v_add_f64 v[162:163], v[44:45], v[162:163]
	v_add_f64 v[176:177], v[44:45], v[176:177]
	;; [unrolled: 1-line block ×7, first 2 shown]
	v_mul_f64 v[102:103], v[68:69], s[12:13]
	v_add_f64 v[170:171], v[44:45], v[172:173]
	v_add_f64 v[16:17], v[44:45], v[16:17]
	;; [unrolled: 1-line block ×10, first 2 shown]
	v_fma_f64 v[0:1], v[168:169], s[26:27], v[4:5]
	v_fma_f64 v[4:5], v[168:169], s[26:27], -v[4:5]
	v_add_f64 v[6:7], v[6:7], v[94:95]
	v_add_f64 v[0:1], v[0:1], v[150:151]
	;; [unrolled: 1-line block ×6, first 2 shown]
	v_fma_f64 v[10:11], v[150:151], s[26:27], -v[2:3]
	v_fma_f64 v[2:3], v[150:151], s[26:27], v[2:3]
	v_add_f64 v[86:87], v[98:99], v[86:87]
	v_mul_f64 v[98:99], v[68:69], s[38:39]
	v_add_f64 v[6:7], v[6:7], v[70:71]
	v_add_f64 v[10:11], v[10:11], v[170:171]
	v_add_f64 v[170:171], v[90:91], v[64:65]
	v_add_f64 v[2:3], v[2:3], v[16:17]
	v_mul_f64 v[16:17], v[84:85], s[4:5]
	v_add_f64 v[86:87], v[86:87], v[96:97]
	v_add_f64 v[6:7], v[6:7], v[58:59]
	v_fma_f64 v[12:13], v[170:171], s[28:29], v[186:187]
	v_fma_f64 v[14:15], v[170:171], s[28:29], -v[186:187]
	v_add_f64 v[78:79], v[86:87], v[78:79]
	v_add_f64 v[64:65], v[6:7], v[64:65]
	;; [unrolled: 1-line block ×3, first 2 shown]
	v_fma_f64 v[12:13], v[188:189], s[28:29], -v[190:191]
	v_add_f64 v[4:5], v[14:15], v[4:5]
	v_fma_f64 v[14:15], v[188:189], s[28:29], v[190:191]
	v_add_f64 v[76:77], v[78:79], v[76:77]
	v_mul_f64 v[78:79], v[92:93], s[16:17]
	v_add_f64 v[64:65], v[64:65], v[82:83]
	v_add_f64 v[10:11], v[12:13], v[10:11]
	v_fma_f64 v[12:13], v[192:193], s[30:31], v[194:195]
	v_add_f64 v[2:3], v[14:15], v[2:3]
	v_fma_f64 v[14:15], v[192:193], s[30:31], -v[194:195]
	v_add_f64 v[74:75], v[76:77], v[74:75]
	v_mul_f64 v[76:77], v[92:93], s[14:15]
	v_add_f64 v[0:1], v[12:13], v[0:1]
	v_fma_f64 v[12:13], v[196:197], s[30:31], -v[198:199]
	v_add_f64 v[4:5], v[14:15], v[4:5]
	v_fma_f64 v[14:15], v[196:197], s[30:31], v[198:199]
	v_fma_f64 v[88:89], v[168:169], s[34:35], -v[76:77]
	v_fma_f64 v[76:77], v[168:169], s[34:35], v[76:77]
	v_add_f64 v[66:67], v[74:75], v[66:67]
	v_add_f64 v[10:11], v[12:13], v[10:11]
	v_fma_f64 v[12:13], v[200:201], s[34:35], v[202:203]
	v_add_f64 v[2:3], v[14:15], v[2:3]
	v_fma_f64 v[14:15], v[200:201], s[34:35], -v[202:203]
	v_add_f64 v[88:89], v[88:89], v[158:159]
	v_add_f64 v[33:34], v[76:77], v[33:34]
	;; [unrolled: 1-line block ×4, first 2 shown]
	v_fma_f64 v[12:13], v[204:205], s[34:35], -v[206:207]
	v_add_f64 v[4:5], v[14:15], v[4:5]
	v_fma_f64 v[14:15], v[204:205], s[34:35], v[206:207]
	v_add_f64 v[10:11], v[12:13], v[10:11]
	v_fma_f64 v[12:13], v[208:209], s[22:23], v[210:211]
	v_add_f64 v[14:15], v[14:15], v[2:3]
	v_fma_f64 v[2:3], v[208:209], s[22:23], -v[210:211]
	v_add_f64 v[12:13], v[12:13], v[0:1]
	v_mul_f64 v[0:1], v[52:53], s[4:5]
	v_add_f64 v[2:3], v[2:3], v[4:5]
	v_mul_f64 v[4:5], v[92:93], s[4:5]
	v_fma_f64 v[214:215], v[212:213], s[22:23], -v[0:1]
	v_fma_f64 v[0:1], v[212:213], s[22:23], v[0:1]
	v_add_f64 v[10:11], v[214:215], v[10:11]
	v_add_f64 v[0:1], v[0:1], v[14:15]
	v_fma_f64 v[14:15], v[168:169], s[22:23], v[4:5]
	v_fma_f64 v[4:5], v[168:169], s[22:23], -v[4:5]
	v_add_f64 v[14:15], v[14:15], v[152:153]
	v_fma_f64 v[152:153], v[150:151], s[22:23], -v[16:17]
	v_fma_f64 v[16:17], v[150:151], s[22:23], v[16:17]
	v_add_f64 v[4:5], v[4:5], v[174:175]
	v_fma_f64 v[174:175], v[204:205], s[26:27], -v[106:107]
	v_add_f64 v[152:153], v[152:153], v[172:173]
	v_mul_f64 v[172:173], v[72:73], s[16:17]
	v_add_f64 v[16:17], v[16:17], v[162:163]
	v_fma_f64 v[186:187], v[170:171], s[30:31], v[172:173]
	v_fma_f64 v[162:163], v[170:171], s[30:31], -v[172:173]
	v_add_f64 v[14:15], v[186:187], v[14:15]
	v_mul_f64 v[186:187], v[68:69], s[16:17]
	v_add_f64 v[4:5], v[162:163], v[4:5]
	v_mul_f64 v[162:163], v[92:93], s[20:21]
	v_mul_f64 v[68:69], v[68:69], s[18:19]
	v_fma_f64 v[190:191], v[188:189], s[30:31], -v[186:187]
	v_fma_f64 v[172:173], v[168:169], s[28:29], v[162:163]
	v_fma_f64 v[100:101], v[168:169], s[28:29], -v[162:163]
	v_add_f64 v[152:153], v[190:191], v[152:153]
	v_mul_f64 v[190:191], v[62:63], s[36:37]
	v_add_f64 v[154:155], v[172:173], v[154:155]
	v_fma_f64 v[172:173], v[188:189], s[30:31], v[186:187]
	v_add_f64 v[21:22], v[100:101], v[21:22]
	v_fma_f64 v[194:195], v[192:193], s[24:25], v[190:191]
	v_add_f64 v[16:17], v[172:173], v[16:17]
	v_mul_f64 v[172:173], v[84:85], s[20:21]
	v_add_f64 v[14:15], v[194:195], v[14:15]
	v_mul_f64 v[194:195], v[60:61], s[36:37]
	v_fma_f64 v[100:101], v[150:151], s[28:29], v[172:173]
	v_fma_f64 v[198:199], v[196:197], s[24:25], -v[194:195]
	v_fma_f64 v[162:163], v[196:197], s[24:25], v[194:195]
	v_add_f64 v[100:101], v[100:101], v[164:165]
	v_add_f64 v[152:153], v[198:199], v[152:153]
	v_add_f64 v[16:17], v[162:163], v[16:17]
	v_mul_f64 v[162:163], v[92:93], s[12:13]
	v_fma_f64 v[198:199], v[200:201], s[26:27], v[104:105]
	v_mul_f64 v[92:93], v[84:85], s[14:15]
	v_add_f64 v[152:153], v[174:175], v[152:153]
	v_fma_f64 v[174:175], v[150:151], s[28:29], -v[172:173]
	v_fma_f64 v[164:165], v[168:169], s[24:25], v[162:163]
	v_fma_f64 v[96:97], v[168:169], s[24:25], -v[162:163]
	v_fma_f64 v[94:95], v[150:151], s[34:35], v[92:93]
	v_fma_f64 v[92:93], v[150:151], s[34:35], -v[92:93]
	v_add_f64 v[14:15], v[198:199], v[14:15]
	v_add_f64 v[174:175], v[174:175], v[176:177]
	v_fma_f64 v[176:177], v[170:171], s[26:27], v[8:9]
	v_fma_f64 v[8:9], v[170:171], s[26:27], -v[8:9]
	v_add_f64 v[156:157], v[164:165], v[156:157]
	v_add_f64 v[23:24], v[96:97], v[23:24]
	v_mul_f64 v[164:165], v[84:85], s[12:13]
	v_mul_f64 v[84:85], v[84:85], s[16:17]
	v_add_f64 v[74:75], v[94:95], v[180:181]
	v_mul_f64 v[94:95], v[72:73], s[12:13]
	v_add_f64 v[76:77], v[92:93], v[148:149]
	v_add_f64 v[154:155], v[176:177], v[154:155]
	v_fma_f64 v[176:177], v[192:193], s[24:25], -v[190:191]
	v_add_f64 v[8:9], v[8:9], v[21:22]
	v_fma_f64 v[21:22], v[200:201], s[26:27], -v[104:105]
	v_fma_f64 v[104:105], v[204:205], s[26:27], v[106:107]
	v_fma_f64 v[172:173], v[150:151], s[24:25], -v[164:165]
	v_fma_f64 v[92:93], v[170:171], s[24:25], -v[94:95]
	v_fma_f64 v[94:95], v[170:171], s[24:25], v[94:95]
	v_add_f64 v[4:5], v[176:177], v[4:5]
	v_fma_f64 v[176:177], v[188:189], s[26:27], -v[18:19]
	v_fma_f64 v[18:19], v[188:189], s[26:27], v[18:19]
	v_add_f64 v[104:105], v[104:105], v[16:17]
	v_mul_f64 v[16:17], v[60:61], s[18:19]
	v_add_f64 v[172:173], v[172:173], v[178:179]
	v_add_f64 v[88:89], v[92:93], v[88:89]
	v_mul_f64 v[92:93], v[50:51], s[14:15]
	v_add_f64 v[33:34], v[94:95], v[33:34]
	;; [unrolled: 3-line block ×3, first 2 shown]
	v_mul_f64 v[176:177], v[62:63], s[18:19]
	v_add_f64 v[18:19], v[18:19], v[100:101]
	v_fma_f64 v[106:107], v[196:197], s[22:23], -v[16:17]
	v_fma_f64 v[16:17], v[196:197], s[22:23], v[16:17]
	v_fma_f64 v[100:101], v[188:189], s[34:35], -v[98:99]
	v_mul_f64 v[72:73], v[72:73], s[18:19]
	v_fma_f64 v[90:91], v[170:171], s[34:35], v[4:5]
	v_fma_f64 v[4:5], v[170:171], s[34:35], -v[4:5]
	v_fma_f64 v[96:97], v[192:193], s[22:23], -v[176:177]
	v_fma_f64 v[178:179], v[192:193], s[22:23], v[176:177]
	v_add_f64 v[106:107], v[106:107], v[174:175]
	v_add_f64 v[16:17], v[16:17], v[18:19]
	v_fma_f64 v[18:19], v[192:193], s[26:27], v[25:26]
	v_add_f64 v[100:101], v[100:101], v[172:173]
	v_fma_f64 v[25:26], v[192:193], s[26:27], -v[25:26]
	v_add_f64 v[90:91], v[90:91], v[156:157]
	v_mul_f64 v[156:157], v[54:55], s[36:37]
	v_add_f64 v[8:9], v[96:97], v[8:9]
	v_mul_f64 v[96:97], v[40:41], s[36:37]
	v_add_f64 v[4:5], v[4:5], v[23:24]
	v_add_f64 v[154:155], v[178:179], v[154:155]
	;; [unrolled: 1-line block ×3, first 2 shown]
	v_fma_f64 v[23:24], v[200:201], s[24:25], -v[156:157]
	v_fma_f64 v[90:91], v[196:197], s[26:27], -v[27:28]
	v_fma_f64 v[27:28], v[196:197], s[26:27], v[27:28]
	v_add_f64 v[4:5], v[25:26], v[4:5]
	v_fma_f64 v[25:26], v[150:151], s[24:25], v[164:165]
	v_fma_f64 v[172:173], v[200:201], s[24:25], v[156:157]
	v_add_f64 v[8:9], v[23:24], v[8:9]
	v_fma_f64 v[23:24], v[204:205], s[24:25], v[96:97]
	v_add_f64 v[90:91], v[90:91], v[100:101]
	v_fma_f64 v[100:101], v[204:205], s[24:25], -v[96:97]
	v_fma_f64 v[96:97], v[150:151], s[30:31], v[84:85]
	v_fma_f64 v[84:85], v[150:151], s[30:31], -v[84:85]
	v_add_f64 v[25:26], v[25:26], v[166:167]
	v_add_f64 v[154:155], v[172:173], v[154:155]
	;; [unrolled: 1-line block ×3, first 2 shown]
	v_mul_f64 v[16:17], v[54:55], s[16:17]
	v_add_f64 v[100:101], v[100:101], v[106:107]
	v_add_f64 v[70:71], v[96:97], v[182:183]
	v_fma_f64 v[96:97], v[170:171], s[22:23], -v[72:73]
	v_add_f64 v[44:45], v[84:85], v[44:45]
	v_mul_f64 v[84:85], v[62:63], s[20:21]
	v_fma_f64 v[106:107], v[188:189], s[22:23], v[68:69]
	v_mul_f64 v[62:63], v[62:63], s[14:15]
	v_fma_f64 v[72:73], v[170:171], s[22:23], v[72:73]
	v_fma_f64 v[68:69], v[188:189], s[22:23], -v[68:69]
	v_fma_f64 v[23:24], v[200:201], s[30:31], v[16:17]
	v_fma_f64 v[16:17], v[200:201], s[30:31], -v[16:17]
	v_fma_f64 v[66:67], v[192:193], s[28:29], -v[84:85]
	v_add_f64 v[58:59], v[106:107], v[70:71]
	v_fma_f64 v[70:71], v[192:193], s[34:35], -v[62:63]
	v_fma_f64 v[84:85], v[192:193], s[28:29], v[84:85]
	v_fma_f64 v[62:63], v[192:193], s[34:35], v[62:63]
	v_add_f64 v[44:45], v[68:69], v[44:45]
	v_mul_f64 v[106:107], v[52:53], s[14:15]
	v_add_f64 v[18:19], v[23:24], v[18:19]
	v_mul_f64 v[23:24], v[40:41], s[16:17]
	;; [unrolled: 2-line block ×3, first 2 shown]
	v_mul_f64 v[40:41], v[40:41], s[4:5]
	v_add_f64 v[33:34], v[84:85], v[33:34]
	v_fma_f64 v[86:87], v[204:205], s[30:31], -v[23:24]
	v_fma_f64 v[23:24], v[204:205], s[30:31], v[23:24]
	v_add_f64 v[86:87], v[86:87], v[90:91]
	v_fma_f64 v[90:91], v[168:169], s[30:31], -v[78:79]
	v_fma_f64 v[78:79], v[168:169], s[30:31], v[78:79]
	v_add_f64 v[90:91], v[90:91], v[160:161]
	v_add_f64 v[46:47], v[78:79], v[46:47]
	v_fma_f64 v[78:79], v[188:189], s[34:35], v[98:99]
	v_fma_f64 v[98:99], v[188:189], s[24:25], v[102:103]
	v_fma_f64 v[102:103], v[188:189], s[24:25], -v[102:103]
	v_add_f64 v[90:91], v[96:97], v[90:91]
	v_mul_f64 v[96:97], v[60:61], s[14:15]
	v_mul_f64 v[60:61], v[60:61], s[20:21]
	v_add_f64 v[25:26], v[78:79], v[25:26]
	v_fma_f64 v[78:79], v[208:209], s[34:35], v[92:93]
	v_add_f64 v[74:75], v[98:99], v[74:75]
	v_add_f64 v[76:77], v[102:103], v[76:77]
	v_mul_f64 v[102:103], v[54:55], s[4:5]
	v_mul_f64 v[54:55], v[54:55], s[0:1]
	v_add_f64 v[46:47], v[72:73], v[46:47]
	v_mul_f64 v[72:73], v[50:51], s[6:7]
	v_add_f64 v[68:69], v[70:71], v[90:91]
	v_fma_f64 v[94:95], v[196:197], s[34:35], v[96:97]
	v_fma_f64 v[98:99], v[196:197], s[28:29], v[60:61]
	v_fma_f64 v[60:61], v[196:197], s[28:29], -v[60:61]
	v_fma_f64 v[96:97], v[196:197], s[34:35], -v[96:97]
	v_add_f64 v[6:7], v[78:79], v[14:15]
	v_add_f64 v[14:15], v[56:57], v[48:49]
	v_mul_f64 v[48:49], v[52:53], s[6:7]
	v_mul_f64 v[78:79], v[50:51], s[0:1]
	v_fma_f64 v[90:91], v[208:209], s[34:35], -v[92:93]
	v_mul_f64 v[92:93], v[52:53], s[0:1]
	v_mul_f64 v[50:51], v[50:51], s[12:13]
	;; [unrolled: 1-line block ×3, first 2 shown]
	v_fma_f64 v[84:85], v[200:201], s[22:23], -v[102:103]
	v_add_f64 v[46:47], v[62:63], v[46:47]
	v_fma_f64 v[62:63], v[204:205], s[22:23], v[40:41]
	v_add_f64 v[25:26], v[27:28], v[25:26]
	v_fma_f64 v[40:41], v[204:205], s[22:23], -v[40:41]
	v_fma_f64 v[70:71], v[212:213], s[34:35], -v[106:107]
	v_fma_f64 v[56:57], v[212:213], s[34:35], v[106:107]
	v_fma_f64 v[27:28], v[208:209], s[30:31], v[72:73]
	v_fma_f64 v[72:73], v[208:209], s[30:31], -v[72:73]
	v_add_f64 v[58:59], v[94:95], v[58:59]
	v_add_f64 v[74:75], v[98:99], v[74:75]
	;; [unrolled: 1-line block ×3, first 2 shown]
	v_fma_f64 v[76:77], v[200:201], s[28:29], -v[54:55]
	v_fma_f64 v[98:99], v[204:205], s[28:29], v[88:89]
	v_fma_f64 v[94:95], v[200:201], s[22:23], v[102:103]
	;; [unrolled: 1-line block ×3, first 2 shown]
	v_fma_f64 v[88:89], v[204:205], s[28:29], -v[88:89]
	v_add_f64 v[44:45], v[96:97], v[44:45]
	v_fma_f64 v[102:103], v[212:213], s[30:31], -v[48:49]
	v_fma_f64 v[106:107], v[212:213], s[30:31], v[48:49]
	v_fma_f64 v[96:97], v[208:209], s[28:29], v[78:79]
	v_add_f64 v[48:49], v[16:17], v[4:5]
	v_fma_f64 v[78:79], v[208:209], s[28:29], -v[78:79]
	v_add_f64 v[150:151], v[14:15], v[38:39]
	v_fma_f64 v[82:83], v[208:209], s[24:25], -v[50:51]
	v_fma_f64 v[156:157], v[212:213], s[24:25], v[52:53]
	v_add_f64 v[66:67], v[84:85], v[66:67]
	v_fma_f64 v[84:85], v[208:209], s[26:27], -v[29:30]
	v_fma_f64 v[148:149], v[212:213], s[28:29], -v[92:93]
	v_fma_f64 v[92:93], v[212:213], s[28:29], v[92:93]
	v_add_f64 v[25:26], v[23:24], v[25:26]
	v_fma_f64 v[158:159], v[212:213], s[24:25], -v[52:53]
	v_add_f64 v[62:63], v[62:63], v[74:75]
	v_fma_f64 v[74:75], v[208:209], s[26:27], v[29:30]
	v_add_f64 v[68:69], v[76:77], v[68:69]
	v_add_f64 v[58:59], v[98:99], v[58:59]
	v_fma_f64 v[76:77], v[212:213], s[26:27], v[31:32]
	v_add_f64 v[33:34], v[94:95], v[33:34]
	v_fma_f64 v[94:95], v[212:213], s[26:27], -v[31:32]
	v_add_f64 v[40:41], v[40:41], v[60:61]
	v_fma_f64 v[60:61], v[208:209], s[24:25], v[50:51]
	v_add_f64 v[98:99], v[54:55], v[46:47]
	v_add_f64 v[88:89], v[88:89], v[44:45]
	;; [unrolled: 1-line block ×10, first 2 shown]
	v_mov_b32_e32 v8, 0x75
	v_add_f64 v[29:30], v[92:93], v[25:26]
	v_add_f64 v[25:26], v[106:107], v[80:81]
	;; [unrolled: 1-line block ×13, first 2 shown]
	v_mul_u32_u24_sdwa v8, v236, v8 dst_sel:DWORD dst_unused:UNUSED_PAD src0_sel:WORD_0 src1_sel:DWORD
	v_add_lshl_u32 v8, v8, v247, 4
	ds_write_b128 v8, v[46:49]
	ds_write_b128 v8, v[42:45] offset:144
	ds_write_b128 v8, v[36:39] offset:288
	;; [unrolled: 1-line block ×12, first 2 shown]
.LBB0_9:
	s_or_b32 exec_lo, exec_lo, s33
	s_waitcnt lgkmcnt(0)
	s_barrier
	buffer_gl0_inv
	ds_read_b128 v[0:3], v255 offset:5616
	ds_read_b128 v[4:7], v255 offset:11232
	ds_read_b128 v[8:11], v255 offset:7488
	ds_read_b128 v[12:15], v255 offset:13104
	ds_read_b128 v[16:19], v255 offset:9360
	ds_read_b128 v[21:24], v255 offset:14976
	ds_read_b128 v[25:28], v255 offset:3744
	s_mov_b32 s0, 0xe8584caa
	s_mov_b32 s1, 0xbfebb67a
	;; [unrolled: 1-line block ×4, first 2 shown]
	s_mul_i32 s7, s9, 0x15f0
	s_mul_i32 s6, s8, 0x15f0
	s_waitcnt lgkmcnt(6)
	v_mul_f64 v[29:30], v[114:115], v[2:3]
	s_waitcnt lgkmcnt(5)
	v_mul_f64 v[31:32], v[110:111], v[6:7]
	v_mul_f64 v[33:34], v[114:115], v[0:1]
	v_mul_f64 v[35:36], v[110:111], v[4:5]
	s_waitcnt lgkmcnt(4)
	v_mul_f64 v[37:38], v[114:115], v[10:11]
	s_waitcnt lgkmcnt(3)
	v_mul_f64 v[39:40], v[110:111], v[14:15]
	v_mul_f64 v[41:42], v[114:115], v[8:9]
	v_mul_f64 v[43:44], v[110:111], v[12:13]
	;; [unrolled: 6-line block ×3, first 2 shown]
	v_fma_f64 v[29:30], v[112:113], v[0:1], v[29:30]
	v_fma_f64 v[31:32], v[108:109], v[4:5], v[31:32]
	v_fma_f64 v[33:34], v[112:113], v[2:3], -v[33:34]
	v_fma_f64 v[35:36], v[108:109], v[6:7], -v[35:36]
	v_fma_f64 v[8:9], v[112:113], v[8:9], v[37:38]
	v_fma_f64 v[12:13], v[108:109], v[12:13], v[39:40]
	v_fma_f64 v[10:11], v[112:113], v[10:11], -v[41:42]
	v_fma_f64 v[14:15], v[108:109], v[14:15], -v[43:44]
	;; [unrolled: 4-line block ×3, first 2 shown]
	ds_read_b128 v[0:3], v255
	ds_read_b128 v[4:7], v255 offset:1872
	s_waitcnt lgkmcnt(0)
	s_barrier
	buffer_gl0_inv
	v_add_f64 v[37:38], v[29:30], v[31:32]
	v_add_f64 v[39:40], v[33:34], v[35:36]
	v_add_f64 v[51:52], v[33:34], -v[35:36]
	v_add_f64 v[41:42], v[8:9], v[12:13]
	v_add_f64 v[63:64], v[8:9], -v[12:13]
	v_add_f64 v[43:44], v[10:11], v[14:15]
	v_add_f64 v[57:58], v[25:26], v[16:17]
	;; [unrolled: 1-line block ×8, first 2 shown]
	v_add_f64 v[29:30], v[29:30], -v[31:32]
	v_add_f64 v[59:60], v[27:28], v[18:19]
	v_add_f64 v[61:62], v[10:11], -v[14:15]
	v_add_f64 v[65:66], v[18:19], -v[23:24]
	;; [unrolled: 1-line block ×3, first 2 shown]
	v_fma_f64 v[37:38], v[37:38], -0.5, v[0:1]
	v_fma_f64 v[39:40], v[39:40], -0.5, v[2:3]
	;; [unrolled: 1-line block ×4, first 2 shown]
	v_add_f64 v[8:9], v[57:58], v[21:22]
	v_fma_f64 v[45:46], v[45:46], -0.5, v[25:26]
	v_add_f64 v[0:1], v[49:50], v[31:32]
	v_fma_f64 v[47:48], v[47:48], -0.5, v[27:28]
	v_add_f64 v[2:3], v[33:34], v[35:36]
	v_add_f64 v[4:5], v[53:54], v[12:13]
	v_add_f64 v[6:7], v[55:56], v[14:15]
	v_add_f64 v[10:11], v[59:60], v[23:24]
	v_fma_f64 v[12:13], v[51:52], s[0:1], v[37:38]
	v_fma_f64 v[16:17], v[51:52], s[4:5], v[37:38]
	;; [unrolled: 1-line block ×12, first 2 shown]
	v_mad_u64_u32 v[52:53], null, s10, v235, 0
	s_mul_hi_u32 s10, s8, 0x15f0
	ds_write_b128 v255, v[0:3]
	ds_write_b128 v255, v[4:7] offset:5616
	ds_write_b128 v255, v[12:15] offset:1872
	;; [unrolled: 1-line block ×8, first 2 shown]
	s_waitcnt lgkmcnt(0)
	s_barrier
	buffer_gl0_inv
	ds_read_b128 v[0:3], v255 offset:5616
	ds_read_b128 v[4:7], v255 offset:11232
	;; [unrolled: 1-line block ×7, first 2 shown]
	s_waitcnt lgkmcnt(6)
	v_mul_f64 v[28:29], v[126:127], v[2:3]
	s_waitcnt lgkmcnt(5)
	v_mul_f64 v[30:31], v[130:131], v[6:7]
	;; [unrolled: 2-line block ×4, first 2 shown]
	v_mul_f64 v[32:33], v[126:127], v[0:1]
	v_mul_f64 v[34:35], v[130:131], v[4:5]
	;; [unrolled: 1-line block ×4, first 2 shown]
	s_waitcnt lgkmcnt(2)
	v_mul_f64 v[44:45], v[142:143], v[18:19]
	v_mul_f64 v[46:47], v[142:143], v[16:17]
	s_waitcnt lgkmcnt(1)
	v_mul_f64 v[48:49], v[146:147], v[22:23]
	v_mul_f64 v[50:51], v[146:147], v[20:21]
	v_fma_f64 v[28:29], v[124:125], v[0:1], v[28:29]
	v_fma_f64 v[30:31], v[128:129], v[4:5], v[30:31]
	v_fma_f64 v[10:11], v[132:133], v[10:11], -v[40:41]
	v_fma_f64 v[12:13], v[136:137], v[12:13], v[38:39]
	v_fma_f64 v[32:33], v[124:125], v[2:3], -v[32:33]
	v_fma_f64 v[34:35], v[128:129], v[6:7], -v[34:35]
	v_fma_f64 v[8:9], v[132:133], v[8:9], v[36:37]
	v_fma_f64 v[14:15], v[136:137], v[14:15], -v[42:43]
	v_fma_f64 v[16:17], v[140:141], v[16:17], v[44:45]
	;; [unrolled: 2-line block ×3, first 2 shown]
	v_fma_f64 v[22:23], v[144:145], v[22:23], -v[50:51]
	v_mov_b32_e32 v38, v53
	ds_read_b128 v[0:3], v255
	ds_read_b128 v[4:7], v255 offset:1872
	v_mad_u64_u32 v[36:37], null, s8, v228, 0
	v_add_f64 v[39:40], v[28:29], v[30:31]
	v_add_f64 v[56:57], v[32:33], -v[34:35]
	v_add_f64 v[44:45], v[8:9], v[12:13]
	v_add_f64 v[46:47], v[10:11], v[14:15]
	s_waitcnt lgkmcnt(2)
	v_add_f64 v[62:63], v[24:25], v[16:17]
	v_add_f64 v[64:65], v[26:27], v[18:19]
	v_add_f64 v[48:49], v[16:17], v[20:21]
	v_add_f64 v[50:51], v[18:19], v[22:23]
	s_waitcnt lgkmcnt(1)
	v_add_f64 v[54:55], v[0:1], v[28:29]
	s_waitcnt lgkmcnt(0)
	v_add_f64 v[58:59], v[4:5], v[8:9]
	v_add_f64 v[60:61], v[6:7], v[10:11]
	v_add_f64 v[28:29], v[28:29], -v[30:31]
	v_add_f64 v[66:67], v[8:9], -v[12:13]
	;; [unrolled: 1-line block ×4, first 2 shown]
	v_mad_u64_u32 v[41:42], null, s11, v235, v[38:39]
	v_add_f64 v[42:43], v[32:33], v[34:35]
	v_add_f64 v[32:33], v[2:3], v[32:33]
	v_mad_u64_u32 v[37:38], null, s9, v228, v[37:38]
	v_fma_f64 v[38:39], v[39:40], -0.5, v[0:1]
	v_fma_f64 v[44:45], v[44:45], -0.5, v[4:5]
	v_mov_b32_e32 v53, v41
	v_fma_f64 v[46:47], v[46:47], -0.5, v[6:7]
	v_fma_f64 v[48:49], v[48:49], -0.5, v[24:25]
	;; [unrolled: 1-line block ×3, first 2 shown]
	v_add_f64 v[0:1], v[54:55], v[30:31]
	v_add_f64 v[4:5], v[58:59], v[12:13]
	;; [unrolled: 1-line block ×4, first 2 shown]
	v_lshlrev_b64 v[52:53], 4, v[52:53]
	v_lshlrev_b64 v[36:37], 4, v[36:37]
	v_add_co_u32 v52, vcc_lo, s2, v52
	v_fma_f64 v[40:41], v[42:43], -0.5, v[2:3]
	v_add_f64 v[42:43], v[10:11], -v[14:15]
	v_add_f64 v[2:3], v[32:33], v[34:35]
	v_add_f64 v[10:11], v[64:65], v[22:23]
	v_fma_f64 v[12:13], v[56:57], s[0:1], v[38:39]
	v_fma_f64 v[16:17], v[56:57], s[4:5], v[38:39]
	v_add_co_ci_u32_e32 v53, vcc_lo, s3, v53, vcc_lo
	v_fma_f64 v[22:23], v[66:67], s[4:5], v[46:47]
	v_fma_f64 v[26:27], v[66:67], s[0:1], v[46:47]
	v_fma_f64 v[30:31], v[70:71], s[4:5], v[50:51]
	v_fma_f64 v[32:33], v[68:69], s[4:5], v[48:49]
	v_fma_f64 v[34:35], v[70:71], s[0:1], v[50:51]
	v_add_co_u32 v36, vcc_lo, v52, v36
	v_add_co_ci_u32_e32 v37, vcc_lo, v53, v37, vcc_lo
	s_mov_b32 s2, 0xad57473c
	v_add_co_u32 v38, vcc_lo, v36, s6
	s_mov_b32 s3, 0x3f4f1e63
	v_fma_f64 v[14:15], v[28:29], s[4:5], v[40:41]
	v_fma_f64 v[18:19], v[28:29], s[0:1], v[40:41]
	;; [unrolled: 1-line block ×5, first 2 shown]
	s_add_i32 s0, s10, s7
	ds_write_b128 v255, v[0:3]
	ds_write_b128 v255, v[4:7] offset:1872
	ds_write_b128 v255, v[8:11] offset:3744
	;; [unrolled: 1-line block ×8, first 2 shown]
	s_waitcnt lgkmcnt(0)
	s_barrier
	buffer_gl0_inv
	ds_read_b128 v[0:3], v255
	ds_read_b128 v[4:7], v255 offset:5616
	ds_read_b128 v[8:11], v255 offset:11232
	;; [unrolled: 1-line block ×8, first 2 shown]
	s_clause 0x13
	buffer_load_dword v102, off, s[48:51], 0 offset:80
	buffer_load_dword v103, off, s[48:51], 0 offset:84
	;; [unrolled: 1-line block ×8, first 2 shown]
	buffer_load_dword v84, off, s[48:51], 0
	buffer_load_dword v85, off, s[48:51], 0 offset:4
	buffer_load_dword v86, off, s[48:51], 0 offset:8
	;; [unrolled: 1-line block ×11, first 2 shown]
	v_add_co_ci_u32_e32 v39, vcc_lo, s0, v37, vcc_lo
	v_add_co_u32 v40, vcc_lo, v38, s6
	s_mul_i32 s1, s9, 0xffffdb70
	v_add_co_ci_u32_e32 v41, vcc_lo, s0, v39, vcc_lo
	s_sub_i32 s1, s1, s8
	s_waitcnt lgkmcnt(8)
	v_mul_f64 v[46:47], v[226:227], v[2:3]
	v_mul_f64 v[48:49], v[226:227], v[0:1]
	v_mad_u64_u32 v[42:43], null, 0xffffdb70, s8, v[40:41]
	v_add_nc_u32_e32 v43, s1, v43
	v_add_co_u32 v44, vcc_lo, v42, s6
	v_add_co_ci_u32_e32 v45, vcc_lo, s0, v43, vcc_lo
	v_add_co_u32 v82, vcc_lo, v44, s6
	v_add_co_ci_u32_e32 v83, vcc_lo, s0, v45, vcc_lo
	v_fma_f64 v[0:1], v[224:225], v[0:1], v[46:47]
	v_fma_f64 v[2:3], v[224:225], v[2:3], -v[48:49]
	v_mad_u64_u32 v[46:47], null, 0xffffdb70, s8, v[82:83]
	v_add_nc_u32_e32 v47, s1, v47
	v_add_co_u32 v48, vcc_lo, v46, s6
	v_add_co_ci_u32_e32 v49, vcc_lo, s0, v47, vcc_lo
	v_mul_f64 v[0:1], v[0:1], s[2:3]
	v_mul_f64 v[2:3], v[2:3], s[2:3]
	s_waitcnt vmcnt(16) lgkmcnt(7)
	v_mul_f64 v[50:51], v[104:105], v[6:7]
	v_mul_f64 v[52:53], v[104:105], v[4:5]
	s_waitcnt vmcnt(8) lgkmcnt(5)
	v_mul_f64 v[58:59], v[86:87], v[14:15]
	v_mul_f64 v[60:61], v[86:87], v[12:13]
	s_clause 0x7
	buffer_load_dword v86, off, s[48:51], 0 offset:16
	buffer_load_dword v87, off, s[48:51], 0 offset:20
	;; [unrolled: 1-line block ×8, first 2 shown]
	v_mul_f64 v[54:55], v[100:101], v[10:11]
	v_mul_f64 v[56:57], v[100:101], v[8:9]
	s_waitcnt vmcnt(12) lgkmcnt(4)
	v_mul_f64 v[62:63], v[96:97], v[18:19]
	v_mul_f64 v[64:65], v[96:97], v[16:17]
	s_waitcnt vmcnt(8) lgkmcnt(3)
	v_mul_f64 v[66:67], v[92:93], v[22:23]
	v_mul_f64 v[68:69], v[92:93], v[20:21]
	v_fma_f64 v[4:5], v[102:103], v[4:5], v[50:51]
	v_fma_f64 v[6:7], v[102:103], v[6:7], -v[52:53]
	v_fma_f64 v[12:13], v[84:85], v[12:13], v[58:59]
	v_fma_f64 v[14:15], v[84:85], v[14:15], -v[60:61]
	v_add_co_u32 v50, vcc_lo, v48, s6
	v_fma_f64 v[8:9], v[98:99], v[8:9], v[54:55]
	v_fma_f64 v[10:11], v[98:99], v[10:11], -v[56:57]
	v_fma_f64 v[16:17], v[94:95], v[16:17], v[62:63]
	v_fma_f64 v[18:19], v[94:95], v[18:19], -v[64:65]
	;; [unrolled: 2-line block ×3, first 2 shown]
	v_add_co_ci_u32_e32 v51, vcc_lo, s0, v49, vcc_lo
	v_mul_f64 v[4:5], v[4:5], s[2:3]
	v_mul_f64 v[6:7], v[6:7], s[2:3]
	;; [unrolled: 1-line block ×10, first 2 shown]
	s_waitcnt vmcnt(4) lgkmcnt(2)
	v_mul_f64 v[70:71], v[88:89], v[26:27]
	s_waitcnt vmcnt(0) lgkmcnt(1)
	v_mul_f64 v[74:75], v[106:107], v[30:31]
	v_mul_f64 v[76:77], v[106:107], v[28:29]
	s_clause 0x3
	buffer_load_dword v106, off, s[48:51], 0 offset:112
	buffer_load_dword v107, off, s[48:51], 0 offset:116
	;; [unrolled: 1-line block ×4, first 2 shown]
	v_mul_f64 v[72:73], v[88:89], v[24:25]
	v_fma_f64 v[24:25], v[86:87], v[24:25], v[70:71]
	v_fma_f64 v[28:29], v[104:105], v[28:29], v[74:75]
	v_fma_f64 v[30:31], v[104:105], v[30:31], -v[76:77]
	v_fma_f64 v[26:27], v[86:87], v[26:27], -v[72:73]
	v_mul_f64 v[24:25], v[24:25], s[2:3]
	v_mul_f64 v[28:29], v[28:29], s[2:3]
	;; [unrolled: 1-line block ×4, first 2 shown]
	s_waitcnt vmcnt(0) lgkmcnt(0)
	v_mul_f64 v[78:79], v[108:109], v[34:35]
	v_mul_f64 v[80:81], v[108:109], v[32:33]
	v_fma_f64 v[32:33], v[106:107], v[32:33], v[78:79]
	v_fma_f64 v[34:35], v[106:107], v[34:35], -v[80:81]
	v_mul_f64 v[32:33], v[32:33], s[2:3]
	v_mul_f64 v[34:35], v[34:35], s[2:3]
	global_store_dwordx4 v[36:37], v[0:3], off
	global_store_dwordx4 v[38:39], v[4:7], off
	;; [unrolled: 1-line block ×9, first 2 shown]
.LBB0_10:
	s_endpgm
	.section	.rodata,"a",@progbits
	.p2align	6, 0x0
	.amdhsa_kernel bluestein_single_back_len1053_dim1_dp_op_CI_CI
		.amdhsa_group_segment_fixed_size 16848
		.amdhsa_private_segment_fixed_size 352
		.amdhsa_kernarg_size 104
		.amdhsa_user_sgpr_count 6
		.amdhsa_user_sgpr_private_segment_buffer 1
		.amdhsa_user_sgpr_dispatch_ptr 0
		.amdhsa_user_sgpr_queue_ptr 0
		.amdhsa_user_sgpr_kernarg_segment_ptr 1
		.amdhsa_user_sgpr_dispatch_id 0
		.amdhsa_user_sgpr_flat_scratch_init 0
		.amdhsa_user_sgpr_private_segment_size 0
		.amdhsa_wavefront_size32 1
		.amdhsa_uses_dynamic_stack 0
		.amdhsa_system_sgpr_private_segment_wavefront_offset 1
		.amdhsa_system_sgpr_workgroup_id_x 1
		.amdhsa_system_sgpr_workgroup_id_y 0
		.amdhsa_system_sgpr_workgroup_id_z 0
		.amdhsa_system_sgpr_workgroup_info 0
		.amdhsa_system_vgpr_workitem_id 0
		.amdhsa_next_free_vgpr 256
		.amdhsa_next_free_sgpr 52
		.amdhsa_reserve_vcc 1
		.amdhsa_reserve_flat_scratch 0
		.amdhsa_float_round_mode_32 0
		.amdhsa_float_round_mode_16_64 0
		.amdhsa_float_denorm_mode_32 3
		.amdhsa_float_denorm_mode_16_64 3
		.amdhsa_dx10_clamp 1
		.amdhsa_ieee_mode 1
		.amdhsa_fp16_overflow 0
		.amdhsa_workgroup_processor_mode 1
		.amdhsa_memory_ordered 1
		.amdhsa_forward_progress 0
		.amdhsa_shared_vgpr_count 0
		.amdhsa_exception_fp_ieee_invalid_op 0
		.amdhsa_exception_fp_denorm_src 0
		.amdhsa_exception_fp_ieee_div_zero 0
		.amdhsa_exception_fp_ieee_overflow 0
		.amdhsa_exception_fp_ieee_underflow 0
		.amdhsa_exception_fp_ieee_inexact 0
		.amdhsa_exception_int_div_zero 0
	.end_amdhsa_kernel
	.text
.Lfunc_end0:
	.size	bluestein_single_back_len1053_dim1_dp_op_CI_CI, .Lfunc_end0-bluestein_single_back_len1053_dim1_dp_op_CI_CI
                                        ; -- End function
	.section	.AMDGPU.csdata,"",@progbits
; Kernel info:
; codeLenInByte = 19412
; NumSgprs: 54
; NumVgprs: 256
; ScratchSize: 352
; MemoryBound: 0
; FloatMode: 240
; IeeeMode: 1
; LDSByteSize: 16848 bytes/workgroup (compile time only)
; SGPRBlocks: 6
; VGPRBlocks: 31
; NumSGPRsForWavesPerEU: 54
; NumVGPRsForWavesPerEU: 256
; Occupancy: 4
; WaveLimiterHint : 1
; COMPUTE_PGM_RSRC2:SCRATCH_EN: 1
; COMPUTE_PGM_RSRC2:USER_SGPR: 6
; COMPUTE_PGM_RSRC2:TRAP_HANDLER: 0
; COMPUTE_PGM_RSRC2:TGID_X_EN: 1
; COMPUTE_PGM_RSRC2:TGID_Y_EN: 0
; COMPUTE_PGM_RSRC2:TGID_Z_EN: 0
; COMPUTE_PGM_RSRC2:TIDIG_COMP_CNT: 0
	.text
	.p2alignl 6, 3214868480
	.fill 48, 4, 3214868480
	.type	__hip_cuid_3532dc13ad04f8fe,@object ; @__hip_cuid_3532dc13ad04f8fe
	.section	.bss,"aw",@nobits
	.globl	__hip_cuid_3532dc13ad04f8fe
__hip_cuid_3532dc13ad04f8fe:
	.byte	0                               ; 0x0
	.size	__hip_cuid_3532dc13ad04f8fe, 1

	.ident	"AMD clang version 19.0.0git (https://github.com/RadeonOpenCompute/llvm-project roc-6.4.0 25133 c7fe45cf4b819c5991fe208aaa96edf142730f1d)"
	.section	".note.GNU-stack","",@progbits
	.addrsig
	.addrsig_sym __hip_cuid_3532dc13ad04f8fe
	.amdgpu_metadata
---
amdhsa.kernels:
  - .args:
      - .actual_access:  read_only
        .address_space:  global
        .offset:         0
        .size:           8
        .value_kind:     global_buffer
      - .actual_access:  read_only
        .address_space:  global
        .offset:         8
        .size:           8
        .value_kind:     global_buffer
      - .actual_access:  read_only
        .address_space:  global
        .offset:         16
        .size:           8
        .value_kind:     global_buffer
      - .actual_access:  read_only
        .address_space:  global
        .offset:         24
        .size:           8
        .value_kind:     global_buffer
      - .actual_access:  read_only
        .address_space:  global
        .offset:         32
        .size:           8
        .value_kind:     global_buffer
      - .offset:         40
        .size:           8
        .value_kind:     by_value
      - .address_space:  global
        .offset:         48
        .size:           8
        .value_kind:     global_buffer
      - .address_space:  global
        .offset:         56
        .size:           8
        .value_kind:     global_buffer
      - .address_space:  global
        .offset:         64
        .size:           8
        .value_kind:     global_buffer
      - .address_space:  global
        .offset:         72
        .size:           8
        .value_kind:     global_buffer
      - .offset:         80
        .size:           4
        .value_kind:     by_value
      - .address_space:  global
        .offset:         88
        .size:           8
        .value_kind:     global_buffer
      - .address_space:  global
        .offset:         96
        .size:           8
        .value_kind:     global_buffer
    .group_segment_fixed_size: 16848
    .kernarg_segment_align: 8
    .kernarg_segment_size: 104
    .language:       OpenCL C
    .language_version:
      - 2
      - 0
    .max_flat_workgroup_size: 117
    .name:           bluestein_single_back_len1053_dim1_dp_op_CI_CI
    .private_segment_fixed_size: 352
    .sgpr_count:     54
    .sgpr_spill_count: 0
    .symbol:         bluestein_single_back_len1053_dim1_dp_op_CI_CI.kd
    .uniform_work_group_size: 1
    .uses_dynamic_stack: false
    .vgpr_count:     256
    .vgpr_spill_count: 87
    .wavefront_size: 32
    .workgroup_processor_mode: 1
amdhsa.target:   amdgcn-amd-amdhsa--gfx1030
amdhsa.version:
  - 1
  - 2
...

	.end_amdgpu_metadata
